;; amdgpu-corpus repo=zjin-lcf/HeCBench kind=compiled arch=gfx906 opt=O3
	.amdgcn_target "amdgcn-amd-amdhsa--gfx906"
	.amdhsa_code_object_version 6
	.section	.text._Z17workloadDiagonalsIjEvPKT_jS2_jPj,"axG",@progbits,_Z17workloadDiagonalsIjEvPKT_jS2_jPj,comdat
	.protected	_Z17workloadDiagonalsIjEvPKT_jS2_jPj ; -- Begin function _Z17workloadDiagonalsIjEvPKT_jS2_jPj
	.globl	_Z17workloadDiagonalsIjEvPKT_jS2_jPj
	.p2align	8
	.type	_Z17workloadDiagonalsIjEvPKT_jS2_jPj,@function
_Z17workloadDiagonalsIjEvPKT_jS2_jPj:   ; @_Z17workloadDiagonalsIjEvPKT_jS2_jPj
; %bb.0:
	s_load_dwordx2 s[12:13], s[4:5], 0x0
	s_load_dword s31, s[4:5], 0x8
	s_load_dwordx2 s[14:15], s[4:5], 0x10
	s_load_dword s30, s[4:5], 0x18
	s_load_dwordx2 s[10:11], s[4:5], 0x20
	s_mov_b32 s8, 0
	v_cmp_ne_u32_e64 s[0:1], 0, v0
	v_cmp_eq_u32_e32 vcc, 0, v0
	s_and_saveexec_b64 s[2:3], vcc
	s_cbranch_execz .LBB0_5
; %bb.1:
	s_waitcnt lgkmcnt(0)
	s_add_u32 s18, s30, s31
	s_addc_u32 s7, 0, 0
	s_mul_i32 s9, s7, s6
	s_load_dword s7, s[4:5], 0x28
	s_mul_hi_u32 s16, s18, s6
	s_add_i32 s9, s16, s9
	s_cmp_lg_u64 s[8:9], 0
	s_mul_i32 s18, s18, s6
	s_cbranch_scc0 .LBB0_21
; %bb.2:
	s_waitcnt lgkmcnt(0)
	v_cvt_f32_u32_e32 v1, s7
	v_mov_b32_e32 v2, 0x4f800000
	s_sub_u32 s8, 0, s7
	s_subb_u32 s19, 0, 0
	v_mac_f32_e32 v1, 0, v2
	v_rcp_f32_e32 v1, v1
	v_mul_f32_e32 v1, 0x5f7ffffc, v1
	v_mul_f32_e32 v2, 0x2f800000, v1
	v_trunc_f32_e32 v2, v2
	v_madmk_f32 v1, v2, 0xcf800000, v1
	v_cvt_u32_f32_e32 v2, v2
	v_cvt_u32_f32_e32 v1, v1
	v_readfirstlane_b32 s22, v2
	v_readfirstlane_b32 s20, v1
	s_mul_i32 s21, s8, s22
	s_mul_hi_u32 s24, s8, s20
	s_mul_i32 s23, s19, s20
	s_add_i32 s21, s24, s21
	s_add_i32 s21, s21, s23
	s_mul_i32 s25, s8, s20
	s_mul_i32 s24, s20, s21
	s_mul_hi_u32 s26, s20, s25
	s_mul_hi_u32 s23, s20, s21
	s_add_u32 s24, s26, s24
	s_addc_u32 s23, 0, s23
	s_mul_hi_u32 s27, s22, s25
	s_mul_i32 s25, s22, s25
	s_add_u32 s24, s24, s25
	s_mul_hi_u32 s26, s22, s21
	s_addc_u32 s23, s23, s27
	s_addc_u32 s24, s26, 0
	s_mul_i32 s21, s22, s21
	s_add_u32 s21, s23, s21
	s_addc_u32 s23, 0, s24
	s_add_u32 s24, s20, s21
	s_cselect_b64 s[20:21], -1, 0
	s_cmp_lg_u64 s[20:21], 0
	s_addc_u32 s22, s22, s23
	s_mul_i32 s20, s8, s22
	s_mul_hi_u32 s21, s8, s24
	s_add_i32 s20, s21, s20
	s_mul_i32 s19, s19, s24
	s_add_i32 s20, s20, s19
	s_mul_i32 s8, s8, s24
	s_mul_hi_u32 s21, s22, s8
	s_mul_i32 s23, s22, s8
	s_mul_i32 s26, s24, s20
	s_mul_hi_u32 s8, s24, s8
	s_mul_hi_u32 s25, s24, s20
	s_add_u32 s8, s8, s26
	s_addc_u32 s25, 0, s25
	s_add_u32 s8, s8, s23
	s_mul_hi_u32 s19, s22, s20
	s_addc_u32 s8, s25, s21
	s_addc_u32 s19, s19, 0
	s_mul_i32 s20, s22, s20
	s_add_u32 s8, s8, s20
	s_addc_u32 s19, 0, s19
	s_add_u32 s8, s24, s8
	s_cselect_b64 s[20:21], -1, 0
	s_cmp_lg_u64 s[20:21], 0
	s_addc_u32 s19, s22, s19
	s_mul_i32 s21, s18, s19
	s_mul_hi_u32 s22, s18, s8
	s_mul_hi_u32 s20, s18, s19
	s_add_u32 s21, s22, s21
	s_addc_u32 s20, 0, s20
	s_mul_hi_u32 s23, s9, s8
	s_mul_i32 s8, s9, s8
	s_add_u32 s8, s21, s8
	s_mul_hi_u32 s22, s9, s19
	s_addc_u32 s8, s20, s23
	s_addc_u32 s20, s22, 0
	s_mul_i32 s19, s9, s19
	s_add_u32 s19, s8, s19
	s_addc_u32 s8, 0, s20
	s_mul_i32 s8, s7, s8
	s_mul_hi_u32 s20, s7, s19
	s_add_u32 s22, s19, 1
	s_add_u32 s23, s19, 2
	s_add_i32 s8, s20, s8
	s_mul_i32 s20, s7, s19
	s_sub_u32 s24, s18, s20
	s_cselect_b64 s[20:21], -1, 0
	s_cmp_lg_u64 s[20:21], 0
	s_subb_u32 s20, s9, s8
	s_sub_u32 s21, s24, s7
	s_cselect_b64 s[8:9], -1, 0
	s_cmp_lg_u64 s[8:9], 0
	s_subb_u32 s8, s20, 0
	s_cmp_ge_u32 s21, s7
	s_cselect_b32 s9, -1, 0
	s_cmp_eq_u32 s8, 0
	s_cselect_b32 s8, s9, -1
	s_cmp_lg_u32 s8, 0
	s_cselect_b32 s8, s23, s22
	s_cmp_ge_u32 s24, s7
	s_cselect_b32 s9, -1, 0
	s_cmp_eq_u32 s20, 0
	s_cselect_b32 s9, s9, -1
	s_cmp_lg_u32 s9, 0
	s_cselect_b32 s8, s8, s19
	s_cbranch_execnz .LBB0_4
.LBB0_3:
	s_waitcnt lgkmcnt(0)
	v_cvt_f32_u32_e32 v1, s7
	s_sub_i32 s8, 0, s7
	v_rcp_iflag_f32_e32 v1, v1
	v_mul_f32_e32 v1, 0x4f7ffffe, v1
	v_cvt_u32_f32_e32 v1, v1
	v_readfirstlane_b32 s9, v1
	s_mul_i32 s8, s8, s9
	s_mul_hi_u32 s8, s9, s8
	s_add_i32 s9, s9, s8
	s_mul_hi_u32 s8, s18, s9
	s_mul_i32 s16, s8, s7
	s_sub_i32 s16, s18, s16
	s_add_i32 s9, s8, 1
	s_sub_i32 s17, s16, s7
	s_cmp_ge_u32 s16, s7
	s_cselect_b32 s8, s9, s8
	s_cselect_b32 s16, s17, s16
	s_add_i32 s9, s8, 1
	s_cmp_ge_u32 s16, s7
	s_cselect_b32 s8, s9, s8
.LBB0_4:
	s_mov_b64 s[16:17], src_shared_base
	s_movk_i32 s16, 0x84
	s_waitcnt lgkmcnt(0)
	s_min_u32 s7, s31, s8
	v_mov_b32_e32 v1, s16
	v_mov_b32_e32 v2, s17
	;; [unrolled: 1-line block ×3, first 2 shown]
	flat_store_dword v[1:2], v3
	s_waitcnt vmcnt(0)
	v_mov_b32_e32 v3, s31
	s_movk_i32 s16, 0x88
	v_sub_u32_e64 v5, s8, v3 clamp
	v_mov_b32_e32 v3, s16
	v_mov_b32_e32 v4, s17
	flat_store_dword v[3:4], v5
	s_waitcnt vmcnt(0)
	flat_load_dword v5, v[3:4] glc
	s_waitcnt vmcnt(0)
	v_mov_b32_e32 v3, 0x8c
	v_mov_b32_e32 v4, s17
	s_waitcnt lgkmcnt(0)
	flat_store_dword v[3:4], v5
	s_waitcnt vmcnt(0)
	flat_load_dword v1, v[1:2] glc
	s_waitcnt vmcnt(0)
	v_mov_b32_e32 v3, 0x90
	s_waitcnt lgkmcnt(0)
	flat_store_dword v[3:4], v1
	s_waitcnt vmcnt(0)
	v_mov_b32_e32 v3, 0x80
	v_mov_b32_e32 v1, 0
	flat_store_dword v[3:4], v1
	s_waitcnt vmcnt(0)
.LBB0_5:
	s_or_b64 exec, exec, s[2:3]
	s_mov_b64 s[2:3], src_shared_base
	v_mov_b32_e32 v1, 0x80
	v_mov_b32_e32 v2, s3
	s_waitcnt lgkmcnt(0)
	s_barrier
	flat_load_dword v1, v[1:2] glc
	s_waitcnt vmcnt(0) lgkmcnt(0)
	v_cmp_ne_u32_e32 vcc, 0, v1
	s_and_saveexec_b64 s[2:3], vcc
	s_xor_b64 s[2:3], exec, s[2:3]
	s_or_saveexec_b64 s[16:17], s[2:3]
	v_mov_b32_e32 v1, s6
	s_xor_b64 exec, exec, s[16:17]
	s_cbranch_execz .LBB0_18
; %bb.6:
	s_mov_b32 s21, 0
	s_mov_b64 s[18:19], src_shared_base
	s_mov_b32 s7, s21
	s_lshl_b64 s[2:3], s[6:7], 2
	s_movk_i32 s18, 0x84
	s_add_u32 s22, s10, s2
	v_mov_b32_e32 v1, s18
	s_addc_u32 s23, s11, s3
	v_mov_b32_e32 v2, s19
	s_movk_i32 s18, 0x88
	v_lshlrev_b32_e32 v15, 2, v0
	s_add_u32 s24, s4, 40
	v_mov_b32_e32 v5, s18
	v_add_u32_e32 v16, -4, v15
	s_addc_u32 s25, s5, 0
	s_add_i32 s7, s6, 1
	v_cmp_eq_u32_e32 vcc, 16, v0
	s_mov_b64 s[26:27], 0
	v_mov_b32_e32 v3, 0x8c
	v_mov_b32_e32 v4, s19
	;; [unrolled: 1-line block ×11, first 2 shown]
	s_branch .LBB0_8
.LBB0_7:                                ;   in Loop: Header=BB0_8 Depth=1
	s_or_b64 exec, exec, s[8:9]
	s_waitcnt lgkmcnt(0)
	s_barrier
	flat_load_dword v9, v[11:12] glc
	s_waitcnt vmcnt(0) lgkmcnt(0)
	v_cmp_ne_u32_e64 s[2:3], 0, v9
	s_or_b64 s[26:27], s[2:3], s[26:27]
	s_andn2_b64 exec, exec, s[26:27]
	s_cbranch_execz .LBB0_17
.LBB0_8:                                ; =>This Inner Loop Header: Depth=1
	flat_load_dword v9, v[1:2] glc
	s_waitcnt vmcnt(0)
	flat_load_dword v13, v[1:2] glc
	s_waitcnt vmcnt(0)
	;; [unrolled: 2-line block ×5, first 2 shown]
	flat_load_dword v22, v[5:6] glc
	s_waitcnt vmcnt(0) lgkmcnt(0)
	v_sub_u32_e32 v13, v13, v14
	v_ashrrev_i32_e32 v13, 1, v13
	v_sub_u32_e32 v14, v21, v22
	v_add_u32_e32 v21, v0, v13
	v_ashrrev_i32_e32 v14, 1, v14
	v_add_u32_e32 v13, -16, v0
	v_sub_u32_e32 v9, v9, v21
	v_add3_u32 v13, v20, v13, v14
	v_add_u32_e32 v9, 16, v9
	v_cmp_lt_i32_e64 s[2:3], -1, v13
	v_cmp_gt_i32_e64 s[8:9], s31, v9
	s_and_b64 s[2:3], s[8:9], s[2:3]
	v_mov_b32_e32 v14, 0
	s_and_saveexec_b64 s[28:29], s[2:3]
	s_cbranch_execz .LBB0_12
; %bb.9:                                ;   in Loop: Header=BB0_8 Depth=1
	v_cmp_gt_i32_e64 s[2:3], s30, v13
	v_cmp_lt_i32_e64 s[8:9], 0, v9
	s_and_b64 s[2:3], s[8:9], s[2:3]
	v_mov_b32_e32 v14, 1
	s_and_saveexec_b64 s[8:9], s[2:3]
	s_cbranch_execz .LBB0_11
; %bb.10:                               ;   in Loop: Header=BB0_8 Depth=1
	v_lshlrev_b64 v[20:21], 2, v[9:10]
	v_mov_b32_e32 v14, s13
	v_add_co_u32_e64 v20, s[2:3], s12, v20
	v_addc_co_u32_e64 v21, s[2:3], v14, v21, s[2:3]
	v_mov_b32_e32 v14, v10
	global_load_dword v22, v[20:21], off offset:-4
	v_lshlrev_b64 v[20:21], 2, v[13:14]
	v_mov_b32_e32 v14, s15
	v_add_co_u32_e64 v20, s[2:3], s14, v20
	v_addc_co_u32_e64 v21, s[2:3], v14, v21, s[2:3]
	global_load_dword v14, v[20:21], off
	s_waitcnt vmcnt(0)
	v_cmp_le_u32_e64 s[2:3], v22, v14
	v_cndmask_b32_e64 v14, 0, 1, s[2:3]
.LBB0_11:                               ;   in Loop: Header=BB0_8 Depth=1
	s_or_b64 exec, exec, s[8:9]
.LBB0_12:                               ;   in Loop: Header=BB0_8 Depth=1
	s_or_b64 exec, exec, s[28:29]
	ds_write_b32 v15, v14
	s_waitcnt lgkmcnt(0)
	s_barrier
	s_and_saveexec_b64 s[8:9], s[0:1]
	s_cbranch_execz .LBB0_15
; %bb.13:                               ;   in Loop: Header=BB0_8 Depth=1
	ds_read2_b32 v[20:21], v16 offset1:1
	s_waitcnt lgkmcnt(0)
	v_cmp_ne_u32_e64 s[2:3], v21, v20
	s_and_b64 exec, exec, s[2:3]
	s_cbranch_execz .LBB0_15
; %bb.14:                               ;   in Loop: Header=BB0_8 Depth=1
	flat_store_dword v[11:12], v17
	s_waitcnt vmcnt(0)
	s_load_dword s2, s[24:25], 0x0
	global_store_dword v10, v9, s[22:23]
	s_waitcnt lgkmcnt(0)
	s_add_i32 s20, s7, s2
	s_lshl_b64 s[2:3], s[20:21], 2
	s_add_u32 s2, s10, s2
	s_addc_u32 s3, s11, s3
	global_store_dword v10, v13, s[2:3]
.LBB0_15:                               ;   in Loop: Header=BB0_8 Depth=1
	s_or_b64 exec, exec, s[8:9]
	s_waitcnt vmcnt(0)
	s_barrier
	s_and_saveexec_b64 s[8:9], vcc
	s_cbranch_execz .LBB0_7
; %bb.16:                               ;   in Loop: Header=BB0_8 Depth=1
	ds_read_b32 v14, v10 offset:124
	v_mov_b32_e32 v21, s19
	v_mov_b32_e32 v23, s19
	s_waitcnt lgkmcnt(0)
	v_cmp_eq_u32_e64 s[2:3], 0, v14
	v_cndmask_b32_e64 v20, v3, v18, s[2:3]
	v_cndmask_b32_e64 v22, v7, v19, s[2:3]
	flat_store_dword v[20:21], v9
	s_waitcnt vmcnt(0)
	flat_store_dword v[22:23], v13
	s_waitcnt vmcnt(0)
	s_branch .LBB0_7
.LBB0_17:
	s_or_b64 exec, exec, s[26:27]
	v_mov_b32_e32 v1, s6
.LBB0_18:
	s_or_b64 exec, exec, s[16:17]
	v_or_b32_e32 v0, v0, v1
	s_mov_b32 s1, 0
	v_cmp_eq_u32_e32 vcc, 0, v0
	s_and_saveexec_b64 s[2:3], vcc
	s_cbranch_execz .LBB0_20
; %bb.19:
	s_load_dword s0, s[4:5], 0x28
	s_mov_b32 s3, s1
	v_mov_b32_e32 v0, 0
	global_store_dword v0, v0, s[10:11]
	v_mov_b32_e32 v1, s31
	s_waitcnt lgkmcnt(0)
	s_add_i32 s2, s0, 1
	s_lshl_b64 s[2:3], s[2:3], 2
	s_add_u32 s2, s10, s2
	s_addc_u32 s3, s11, s3
	s_lshl_b64 s[4:5], s[0:1], 2
	global_store_dword v0, v0, s[2:3]
	s_add_u32 s2, s10, s4
	s_addc_u32 s3, s11, s5
	s_lshl_b32 s0, s0, 1
	s_lshl_b64 s[0:1], s[0:1], 2
	s_add_u32 s0, s10, s0
	global_store_dword v0, v1, s[2:3]
	s_addc_u32 s1, s11, s1
	v_mov_b32_e32 v1, s30
	global_store_dword v0, v1, s[0:1] offset:4
.LBB0_20:
	s_endpgm
.LBB0_21:
                                        ; implicit-def: $sgpr8_sgpr9
	s_branch .LBB0_3
	.section	.rodata,"a",@progbits
	.p2align	6, 0x0
	.amdhsa_kernel _Z17workloadDiagonalsIjEvPKT_jS2_jPj
		.amdhsa_group_segment_fixed_size 148
		.amdhsa_private_segment_fixed_size 0
		.amdhsa_kernarg_size 296
		.amdhsa_user_sgpr_count 6
		.amdhsa_user_sgpr_private_segment_buffer 1
		.amdhsa_user_sgpr_dispatch_ptr 0
		.amdhsa_user_sgpr_queue_ptr 0
		.amdhsa_user_sgpr_kernarg_segment_ptr 1
		.amdhsa_user_sgpr_dispatch_id 0
		.amdhsa_user_sgpr_flat_scratch_init 0
		.amdhsa_user_sgpr_private_segment_size 0
		.amdhsa_uses_dynamic_stack 0
		.amdhsa_system_sgpr_private_segment_wavefront_offset 0
		.amdhsa_system_sgpr_workgroup_id_x 1
		.amdhsa_system_sgpr_workgroup_id_y 0
		.amdhsa_system_sgpr_workgroup_id_z 0
		.amdhsa_system_sgpr_workgroup_info 0
		.amdhsa_system_vgpr_workitem_id 0
		.amdhsa_next_free_vgpr 24
		.amdhsa_next_free_sgpr 32
		.amdhsa_reserve_vcc 1
		.amdhsa_reserve_flat_scratch 0
		.amdhsa_float_round_mode_32 0
		.amdhsa_float_round_mode_16_64 0
		.amdhsa_float_denorm_mode_32 3
		.amdhsa_float_denorm_mode_16_64 3
		.amdhsa_dx10_clamp 1
		.amdhsa_ieee_mode 1
		.amdhsa_fp16_overflow 0
		.amdhsa_exception_fp_ieee_invalid_op 0
		.amdhsa_exception_fp_denorm_src 0
		.amdhsa_exception_fp_ieee_div_zero 0
		.amdhsa_exception_fp_ieee_overflow 0
		.amdhsa_exception_fp_ieee_underflow 0
		.amdhsa_exception_fp_ieee_inexact 0
		.amdhsa_exception_int_div_zero 0
	.end_amdhsa_kernel
	.section	.text._Z17workloadDiagonalsIjEvPKT_jS2_jPj,"axG",@progbits,_Z17workloadDiagonalsIjEvPKT_jS2_jPj,comdat
.Lfunc_end0:
	.size	_Z17workloadDiagonalsIjEvPKT_jS2_jPj, .Lfunc_end0-_Z17workloadDiagonalsIjEvPKT_jS2_jPj
                                        ; -- End function
	.set _Z17workloadDiagonalsIjEvPKT_jS2_jPj.num_vgpr, 24
	.set _Z17workloadDiagonalsIjEvPKT_jS2_jPj.num_agpr, 0
	.set _Z17workloadDiagonalsIjEvPKT_jS2_jPj.numbered_sgpr, 32
	.set _Z17workloadDiagonalsIjEvPKT_jS2_jPj.num_named_barrier, 0
	.set _Z17workloadDiagonalsIjEvPKT_jS2_jPj.private_seg_size, 0
	.set _Z17workloadDiagonalsIjEvPKT_jS2_jPj.uses_vcc, 1
	.set _Z17workloadDiagonalsIjEvPKT_jS2_jPj.uses_flat_scratch, 0
	.set _Z17workloadDiagonalsIjEvPKT_jS2_jPj.has_dyn_sized_stack, 0
	.set _Z17workloadDiagonalsIjEvPKT_jS2_jPj.has_recursion, 0
	.set _Z17workloadDiagonalsIjEvPKT_jS2_jPj.has_indirect_call, 0
	.section	.AMDGPU.csdata,"",@progbits
; Kernel info:
; codeLenInByte = 1684
; TotalNumSgprs: 36
; NumVgprs: 24
; ScratchSize: 0
; MemoryBound: 0
; FloatMode: 240
; IeeeMode: 1
; LDSByteSize: 148 bytes/workgroup (compile time only)
; SGPRBlocks: 4
; VGPRBlocks: 5
; NumSGPRsForWavesPerEU: 36
; NumVGPRsForWavesPerEU: 24
; Occupancy: 10
; WaveLimiterHint : 1
; COMPUTE_PGM_RSRC2:SCRATCH_EN: 0
; COMPUTE_PGM_RSRC2:USER_SGPR: 6
; COMPUTE_PGM_RSRC2:TRAP_HANDLER: 0
; COMPUTE_PGM_RSRC2:TGID_X_EN: 1
; COMPUTE_PGM_RSRC2:TGID_Y_EN: 0
; COMPUTE_PGM_RSRC2:TGID_Z_EN: 0
; COMPUTE_PGM_RSRC2:TIDIG_COMP_CNT: 0
	.section	.text._Z15mergeSinglePathIjLb0ELb0EEvPKT_jS2_jPKjPS0_j,"axG",@progbits,_Z15mergeSinglePathIjLb0ELb0EEvPKT_jS2_jPKjPS0_j,comdat
	.protected	_Z15mergeSinglePathIjLb0ELb0EEvPKT_jS2_jPKjPS0_j ; -- Begin function _Z15mergeSinglePathIjLb0ELb0EEvPKT_jS2_jPKjPS0_j
	.globl	_Z15mergeSinglePathIjLb0ELb0EEvPKT_jS2_jPKjPS0_j
	.p2align	8
	.type	_Z15mergeSinglePathIjLb0ELb0EEvPKT_jS2_jPKjPS0_j,@function
_Z15mergeSinglePathIjLb0ELb0EEvPKT_jS2_jPKjPS0_j: ; @_Z15mergeSinglePathIjLb0ELb0EEvPKT_jS2_jPKjPS0_j
; %bb.0:
	s_load_dwordx2 s[10:11], s[4:5], 0x0
	s_load_dwordx2 s[8:9], s[4:5], 0x10
	s_load_dwordx4 s[0:3], s[4:5], 0x20
	v_alignbit_b32 v1, v0, v0, 5
	v_cmp_lt_i32_e32 vcc, 1, v1
	s_and_saveexec_b64 s[12:13], vcc
	s_xor_b64 s[12:13], exec, s[12:13]
	s_cbranch_execz .LBB1_8
; %bb.1:
	v_cmp_lt_i32_e32 vcc, 2, v1
	s_and_saveexec_b64 s[14:15], vcc
	s_xor_b64 s[14:15], exec, s[14:15]
	s_cbranch_execz .LBB1_5
; %bb.2:
	v_cmp_eq_u32_e32 vcc, 3, v1
	s_and_saveexec_b64 s[16:17], vcc
	s_cbranch_execz .LBB1_4
; %bb.3:
	s_load_dword s7, s[4:5], 0x38
	s_mov_b32 s21, 0
	s_mov_b64 s[18:19], src_shared_base
	v_mov_b32_e32 v1, 0x101c
	v_mov_b32_e32 v3, -1
	s_waitcnt lgkmcnt(0)
	s_add_i32 s7, s6, s7
	s_add_i32 s20, s7, 2
	s_lshl_b64 s[20:21], s[20:21], 2
	s_add_u32 s20, s0, s20
	s_addc_u32 s21, s1, s21
	s_load_dword s7, s[20:21], 0x0
	v_mov_b32_e32 v4, 0
	v_mov_b32_e32 v2, s19
	s_waitcnt lgkmcnt(0)
	v_mov_b32_e32 v5, s7
	flat_store_dword v[1:2], v5
	s_waitcnt vmcnt(0)
	ds_write_b32 v4, v3 offset:4108
.LBB1_4:
	s_or_b64 exec, exec, s[16:17]
.LBB1_5:
	s_andn2_saveexec_b64 s[14:15], s[14:15]
	s_cbranch_execz .LBB1_7
; %bb.6:
	s_load_dword s7, s[4:5], 0x38
	s_mov_b32 s19, 0
	s_mov_b64 s[16:17], src_shared_base
	v_mov_b32_e32 v1, 0x1014
	v_mov_b32_e32 v3, -1
	s_waitcnt lgkmcnt(0)
	s_add_i32 s7, s6, s7
	s_add_i32 s18, s7, 1
	s_lshl_b64 s[18:19], s[18:19], 2
	s_add_u32 s18, s0, s18
	s_addc_u32 s19, s1, s19
	s_load_dword s7, s[18:19], 0x0
	v_mov_b32_e32 v4, 0
	v_mov_b32_e32 v2, s17
	s_waitcnt lgkmcnt(0)
	v_mov_b32_e32 v5, s7
	flat_store_dword v[1:2], v5
	s_waitcnt vmcnt(0)
	ds_write_b32 v4, v3 offset:2052
.LBB1_7:
	s_or_b64 exec, exec, s[14:15]
                                        ; implicit-def: $vgpr1
.LBB1_8:
	s_andn2_saveexec_b64 s[12:13], s[12:13]
	s_cbranch_execz .LBB1_16
; %bb.9:
	s_mov_b32 s17, 0
	v_cmp_lt_i32_e32 vcc, 0, v1
	s_and_saveexec_b64 s[14:15], vcc
	s_xor_b64 s[14:15], exec, s[14:15]
	s_cbranch_execz .LBB1_11
; %bb.10:
	s_add_i32 s16, s6, 1
	s_lshl_b64 s[16:17], s[16:17], 2
	s_waitcnt lgkmcnt(0)
	s_add_u32 s16, s0, s16
	s_addc_u32 s17, s1, s17
	s_load_dword s7, s[16:17], 0x0
	s_mov_b64 s[18:19], src_shared_base
	v_mov_b32_e32 v1, 0x1018
	v_mov_b32_e32 v3, 0
	;; [unrolled: 1-line block ×3, first 2 shown]
	s_waitcnt lgkmcnt(0)
	v_mov_b32_e32 v4, s7
	flat_store_dword v[1:2], v4
	s_waitcnt vmcnt(0)
	ds_write_b32 v3, v3 offset:2056
                                        ; implicit-def: $vgpr1
.LBB1_11:
	s_andn2_saveexec_b64 s[14:15], s[14:15]
	s_cbranch_execz .LBB1_15
; %bb.12:
	s_mov_b32 s7, 0
	v_cmp_eq_u32_e32 vcc, 0, v1
	s_and_saveexec_b64 s[16:17], vcc
	s_cbranch_execz .LBB1_14
; %bb.13:
	s_lshl_b64 s[6:7], s[6:7], 2
	s_waitcnt lgkmcnt(0)
	s_add_u32 s0, s0, s6
	s_addc_u32 s1, s1, s7
	s_load_dword s0, s[0:1], 0x0
	s_mov_b64 s[18:19], src_shared_base
	v_mov_b32_e32 v1, 0x1010
	v_mov_b32_e32 v3, 0
	;; [unrolled: 1-line block ×3, first 2 shown]
	s_waitcnt lgkmcnt(0)
	v_mov_b32_e32 v4, s0
	flat_store_dword v[1:2], v4
	s_waitcnt vmcnt(0)
	ds_write_b32 v3, v3
.LBB1_14:
	s_or_b64 exec, exec, s[16:17]
.LBB1_15:
	s_or_b64 exec, exec, s[14:15]
.LBB1_16:
	s_or_b64 exec, exec, s[12:13]
	v_lshlrev_b32_e32 v14, 2, v0
	s_waitcnt lgkmcnt(0)
	s_movk_i32 s0, 0x7f
	v_lshlrev_b32_e32 v13, 1, v0
	v_mad_u32_u24 v16, v0, 12, v14
	v_cmp_eq_u32_e32 vcc, s0, v0
	v_mov_b32_e32 v0, s11
	v_add_co_u32_e64 v17, s[0:1], s10, v14
	v_addc_co_u32_e64 v18, s[0:1], 0, v0, s[0:1]
	s_mov_b64 s[6:7], src_shared_base
	s_add_u32 s4, s4, 56
	v_mov_b32_e32 v0, s9
	v_add_co_u32_e64 v19, s[0:1], s8, v14
	s_addc_u32 s5, s5, 0
	v_or_b32_e32 v15, 1, v13
	v_mov_b32_e32 v1, 0
	v_addc_co_u32_e64 v20, s[0:1], 0, v0, s[0:1]
	s_mov_b64 s[8:9], 0
	s_movk_i32 s6, 0x1010
	v_mov_b32_e32 v2, 0x1010
	v_mov_b32_e32 v5, s7
	;; [unrolled: 1-line block ×5, first 2 shown]
	s_movk_i32 s10, 0x1014
	v_lshlrev_b32_e32 v21, 2, v14
	v_mov_b32_e32 v4, 0x1014
	v_mov_b32_e32 v8, 0x101c
	s_barrier
	s_branch .LBB1_19
.LBB1_17:                               ;   in Loop: Header=BB1_19 Depth=1
	s_or_b64 exec, exec, s[0:1]
	s_xor_b64 s[14:15], exec, -1
	s_waitcnt vmcnt(0) lgkmcnt(0)
	s_barrier
.LBB1_18:                               ;   in Loop: Header=BB1_19 Depth=1
	s_or_b64 exec, exec, s[12:13]
	s_and_b64 s[0:1], exec, s[14:15]
	s_or_b64 s[8:9], s[0:1], s[8:9]
	s_andn2_b64 exec, exec, s[8:9]
	s_cbranch_execz .LBB1_43
.LBB1_19:                               ; =>This Loop Header: Depth=1
                                        ;     Child Loop BB1_24 Depth 2
	flat_load_dword v0, v[2:3] glc
	s_waitcnt vmcnt(0)
	flat_load_dword v9, v[6:7] glc
	s_waitcnt vmcnt(0)
	s_mov_b64 s[14:15], -1
	s_mov_b64 s[16:17], -1
	s_waitcnt lgkmcnt(0)
	v_cmp_ge_u32_e64 s[0:1], v0, v9
	s_and_saveexec_b64 s[12:13], s[0:1]
	s_cbranch_execz .LBB1_21
; %bb.20:                               ;   in Loop: Header=BB1_19 Depth=1
	v_mov_b32_e32 v9, v5
	flat_load_dword v0, v[4:5] glc
	s_waitcnt vmcnt(0)
	flat_load_dword v9, v[8:9] glc
	s_waitcnt vmcnt(0) lgkmcnt(0)
	v_cmp_lt_u32_e64 s[0:1], v0, v9
	s_orn2_b64 s[16:17], s[0:1], exec
.LBB1_21:                               ;   in Loop: Header=BB1_19 Depth=1
	s_or_b64 exec, exec, s[12:13]
	s_and_saveexec_b64 s[12:13], s[16:17]
	s_cbranch_execz .LBB1_18
; %bb.22:                               ;   in Loop: Header=BB1_19 Depth=1
	v_mov_b32_e32 v11, s7
	v_mov_b32_e32 v10, s6
	s_mov_b32 s11, s7
	flat_load_dword v0, v[10:11] glc
	s_waitcnt vmcnt(0)
	v_mov_b32_e32 v23, s11
	v_mov_b32_e32 v22, s10
	flat_load_dword v24, v[22:23] glc
	s_waitcnt vmcnt(0)
	s_load_dword s0, s[4:5], 0xc
	v_mov_b32_e32 v25, v1
	s_mov_b64 s[14:15], 0
	s_mov_b64 s[18:19], 0
                                        ; implicit-def: $sgpr16_sgpr17
	s_waitcnt lgkmcnt(0)
	s_and_b32 s0, s0, 0xffff
	s_lshl_b32 s11, s0, 2
	v_lshlrev_b64 v[26:27], 2, v[0:1]
	v_add_co_u32_e64 v26, s[0:1], v17, v26
	v_lshlrev_b64 v[24:25], 2, v[24:25]
	v_addc_co_u32_e64 v27, s[0:1], v18, v27, s[0:1]
	v_add_co_u32_e64 v24, s[0:1], v19, v24
	v_addc_co_u32_e64 v25, s[0:1], v20, v25, s[0:1]
	global_load_dword v0, v[26:27], off
	v_add_co_u32_e64 v26, s[0:1], s11, v26
	v_addc_co_u32_e64 v27, s[0:1], 0, v27, s[0:1]
	global_load_dword v9, v[24:25], off
	global_load_dword v12, v[26:27], off
	v_add_co_u32_e64 v24, s[0:1], s11, v24
	v_addc_co_u32_e64 v25, s[0:1], 0, v25, s[0:1]
	v_add_co_u32_e64 v26, s[0:1], s11, v26
	v_addc_co_u32_e64 v27, s[0:1], 0, v27, s[0:1]
	global_load_dword v28, v[24:25], off
	global_load_dword v29, v[26:27], off
	v_add_co_u32_e64 v24, s[0:1], s11, v24
	v_addc_co_u32_e64 v25, s[0:1], 0, v25, s[0:1]
	;; [unrolled: 6-line block ×3, first 2 shown]
	global_load_dword v24, v[24:25], off
	v_add_u32_e32 v25, s11, v14
	v_add_u32_e32 v26, s11, v25
	;; [unrolled: 1-line block ×3, first 2 shown]
	s_waitcnt vmcnt(7)
	ds_write_b32 v14, v0 offset:4
	s_waitcnt vmcnt(6)
	ds_write_b32 v14, v9 offset:2060
	;; [unrolled: 2-line block ×8, first 2 shown]
	flat_load_dword v0, v[10:11] glc
	s_waitcnt vmcnt(0)
	flat_load_dword v9, v[22:23] glc
	s_waitcnt vmcnt(0)
	v_mov_b32_e32 v12, v13
	v_mov_b32_e32 v23, v15
	s_waitcnt lgkmcnt(0)
	s_barrier
	s_branch .LBB1_24
.LBB1_23:                               ;   in Loop: Header=BB1_24 Depth=2
	s_or_b64 exec, exec, s[18:19]
	s_and_b64 s[0:1], exec, s[16:17]
	s_or_b64 s[14:15], s[0:1], s[14:15]
	s_mov_b64 s[18:19], 0
                                        ; implicit-def: $sgpr16_sgpr17
	s_andn2_b64 exec, exec, s[14:15]
	s_cbranch_execz .LBB1_29
.LBB1_24:                               ;   Parent Loop BB1_19 Depth=1
                                        ; =>  This Inner Loop Header: Depth=2
	v_mov_b32_e32 v10, v23
	v_lshlrev_b32_e32 v22, 2, v10
	v_not_b32_e32 v11, v10
	v_lshl_add_u32 v24, v11, 2, v16
	ds_read_b32 v11, v22
	ds_read_b32 v23, v24 offset:2064
	v_add_u32_e32 v12, 1, v12
	v_lshrrev_b32_e32 v12, 1, v12
	s_or_b64 s[16:17], s[16:17], exec
	s_waitcnt lgkmcnt(0)
	v_cmp_le_u32_e64 s[0:1], v11, v23
                                        ; implicit-def: $vgpr23
	s_and_saveexec_b64 s[20:21], s[0:1]
; %bb.25:                               ;   in Loop: Header=BB1_24 Depth=2
	v_add_u32_e32 v23, v12, v10
	s_andn2_b64 s[16:17], s[16:17], exec
; %bb.26:                               ;   in Loop: Header=BB1_24 Depth=2
	s_or_b64 exec, exec, s[20:21]
	s_and_b64 s[0:1], exec, s[16:17]
	s_or_b64 s[18:19], s[0:1], s[18:19]
	s_andn2_b64 exec, exec, s[18:19]
	s_cbranch_execnz .LBB1_24
; %bb.27:                               ;   in Loop: Header=BB1_24 Depth=2
	s_or_b64 exec, exec, s[18:19]
	v_add_u32_e32 v23, -4, v22
	ds_read_b32 v23, v23
	ds_read_b32 v24, v24 offset:2068
	s_mov_b64 s[16:17], -1
	s_waitcnt lgkmcnt(0)
	v_cmp_gt_u32_e64 s[0:1], v23, v24
                                        ; implicit-def: $vgpr23
	s_and_saveexec_b64 s[18:19], s[0:1]
	s_cbranch_execz .LBB1_23
; %bb.28:                               ;   in Loop: Header=BB1_24 Depth=2
	v_sub_u32_e32 v23, v10, v12
	s_xor_b64 s[16:17], exec, -1
	s_branch .LBB1_23
.LBB1_29:                               ;   in Loop: Header=BB1_19 Depth=1
	s_or_b64 exec, exec, s[14:15]
	v_sub_u32_e32 v12, v14, v10
	v_lshlrev_b32_e32 v26, 2, v12
	ds_read_b32 v25, v26 offset:2064
                                        ; implicit-def: $vgpr12
                                        ; implicit-def: $vgpr23
	s_waitcnt lgkmcnt(0)
	v_cmp_le_u32_e64 s[0:1], v11, v25
	s_and_saveexec_b64 s[14:15], s[0:1]
	s_xor_b64 s[0:1], exec, s[14:15]
; %bb.30:                               ;   in Loop: Header=BB1_19 Depth=1
	ds_read_b32 v12, v22 offset:4
	v_add_u32_e32 v23, 1, v10
                                        ; implicit-def: $vgpr26
; %bb.31:                               ;   in Loop: Header=BB1_19 Depth=1
	s_or_saveexec_b64 s[0:1], s[0:1]
	v_or_b32_e32 v22, 2, v14
	v_sub_u32_e32 v22, v22, v10
	v_mov_b32_e32 v24, v25
	s_xor_b64 exec, exec, s[0:1]
	s_cbranch_execz .LBB1_33
; %bb.32:                               ;   in Loop: Header=BB1_19 Depth=1
	ds_read_b32 v24, v26 offset:2068
	v_add_u32_e32 v22, 1, v22
	v_mov_b32_e32 v23, v10
	s_waitcnt lgkmcnt(1)
	v_mov_b32_e32 v12, v11
	v_mov_b32_e32 v11, v25
.LBB1_33:                               ;   in Loop: Header=BB1_19 Depth=1
	s_or_b64 exec, exec, s[0:1]
	v_lshlrev_b64 v[25:26], 2, v[0:1]
	v_mov_b32_e32 v10, v1
	v_mov_b32_e32 v0, s3
	v_add_co_u32_e64 v25, s[0:1], s2, v25
	v_lshlrev_b64 v[9:10], 2, v[9:10]
	v_addc_co_u32_e64 v0, s[0:1], v0, v26, s[0:1]
	v_add_co_u32_e64 v9, s[0:1], v25, v9
	v_addc_co_u32_e64 v0, s[0:1], v0, v10, s[0:1]
	v_add_co_u32_e64 v9, s[0:1], v9, v21
	v_addc_co_u32_e64 v10, s[0:1], 0, v0, s[0:1]
	s_waitcnt lgkmcnt(0)
	v_cmp_le_u32_e64 s[0:1], v12, v24
	global_store_dword v[9:10], v11, off
                                        ; implicit-def: $vgpr11
                                        ; implicit-def: $vgpr0
	s_and_saveexec_b64 s[14:15], s[0:1]
	s_xor_b64 s[0:1], exec, s[14:15]
; %bb.34:                               ;   in Loop: Header=BB1_19 Depth=1
	v_lshlrev_b32_e32 v0, 2, v23
	ds_read_b32 v11, v0 offset:4
	v_add_u32_e32 v0, 1, v23
                                        ; implicit-def: $vgpr23
; %bb.35:                               ;   in Loop: Header=BB1_19 Depth=1
	s_or_saveexec_b64 s[0:1], s[0:1]
	v_mov_b32_e32 v25, v24
	s_xor_b64 exec, exec, s[0:1]
	s_cbranch_execz .LBB1_37
; %bb.36:                               ;   in Loop: Header=BB1_19 Depth=1
	v_lshlrev_b32_e32 v0, 2, v22
	ds_read_b32 v25, v0 offset:2060
	s_waitcnt lgkmcnt(1)
	v_add_u32_e32 v11, 1, v22
	v_mov_b32_e32 v0, v23
	v_mov_b32_e32 v22, v11
	v_mov_b32_e32 v11, v12
	v_mov_b32_e32 v12, v24
.LBB1_37:                               ;   in Loop: Header=BB1_19 Depth=1
	s_or_b64 exec, exec, s[0:1]
	s_waitcnt lgkmcnt(0)
	v_cmp_le_u32_e64 s[0:1], v11, v25
	global_store_dword v[9:10], v12, off offset:4
                                        ; implicit-def: $vgpr12
	s_and_saveexec_b64 s[14:15], s[0:1]
	s_xor_b64 s[0:1], exec, s[14:15]
; %bb.38:                               ;   in Loop: Header=BB1_19 Depth=1
	v_lshlrev_b32_e32 v12, 2, v0
	ds_read_b32 v12, v12 offset:4
	v_add_u32_e32 v22, -1, v22
; %bb.39:                               ;   in Loop: Header=BB1_19 Depth=1
	s_or_saveexec_b64 s[0:1], s[0:1]
	v_mov_b32_e32 v23, v25
	s_xor_b64 exec, exec, s[0:1]
	s_cbranch_execz .LBB1_41
; %bb.40:                               ;   in Loop: Header=BB1_19 Depth=1
	s_waitcnt lgkmcnt(0)
	v_lshlrev_b32_e32 v12, 2, v22
	ds_read_b32 v23, v12 offset:2060
	v_add_u32_e32 v0, -1, v0
	v_mov_b32_e32 v12, v11
	v_mov_b32_e32 v11, v25
.LBB1_41:                               ;   in Loop: Header=BB1_19 Depth=1
	s_or_b64 exec, exec, s[0:1]
	s_waitcnt lgkmcnt(0)
	v_min_u32_e32 v12, v12, v23
	global_store_dwordx2 v[9:10], v[11:12], off offset:8
	s_and_saveexec_b64 s[0:1], vcc
	s_cbranch_execz .LBB1_17
; %bb.42:                               ;   in Loop: Header=BB1_19 Depth=1
	v_mov_b32_e32 v10, s7
	v_mov_b32_e32 v9, s6
	flat_load_dword v11, v[9:10] glc
	s_waitcnt vmcnt(0)
	s_mov_b32 s11, s7
	s_waitcnt lgkmcnt(0)
	v_add_u32_e32 v0, v11, v0
	flat_store_dword v[9:10], v0
	s_waitcnt vmcnt(0)
	v_mov_b32_e32 v9, s10
	v_mov_b32_e32 v10, s11
	flat_load_dword v0, v[9:10] glc
	s_waitcnt vmcnt(0) lgkmcnt(0)
	v_add_u32_e32 v0, v0, v22
	flat_store_dword v[9:10], v0
	s_waitcnt vmcnt(0)
	s_branch .LBB1_17
.LBB1_43:
	s_endpgm
	.section	.rodata,"a",@progbits
	.p2align	6, 0x0
	.amdhsa_kernel _Z15mergeSinglePathIjLb0ELb0EEvPKT_jS2_jPKjPS0_j
		.amdhsa_group_segment_fixed_size 4128
		.amdhsa_private_segment_fixed_size 0
		.amdhsa_kernarg_size 312
		.amdhsa_user_sgpr_count 6
		.amdhsa_user_sgpr_private_segment_buffer 1
		.amdhsa_user_sgpr_dispatch_ptr 0
		.amdhsa_user_sgpr_queue_ptr 0
		.amdhsa_user_sgpr_kernarg_segment_ptr 1
		.amdhsa_user_sgpr_dispatch_id 0
		.amdhsa_user_sgpr_flat_scratch_init 0
		.amdhsa_user_sgpr_private_segment_size 0
		.amdhsa_uses_dynamic_stack 0
		.amdhsa_system_sgpr_private_segment_wavefront_offset 0
		.amdhsa_system_sgpr_workgroup_id_x 1
		.amdhsa_system_sgpr_workgroup_id_y 0
		.amdhsa_system_sgpr_workgroup_id_z 0
		.amdhsa_system_sgpr_workgroup_info 0
		.amdhsa_system_vgpr_workitem_id 0
		.amdhsa_next_free_vgpr 32
		.amdhsa_next_free_sgpr 61
		.amdhsa_reserve_vcc 1
		.amdhsa_reserve_flat_scratch 0
		.amdhsa_float_round_mode_32 0
		.amdhsa_float_round_mode_16_64 0
		.amdhsa_float_denorm_mode_32 3
		.amdhsa_float_denorm_mode_16_64 3
		.amdhsa_dx10_clamp 1
		.amdhsa_ieee_mode 1
		.amdhsa_fp16_overflow 0
		.amdhsa_exception_fp_ieee_invalid_op 0
		.amdhsa_exception_fp_denorm_src 0
		.amdhsa_exception_fp_ieee_div_zero 0
		.amdhsa_exception_fp_ieee_overflow 0
		.amdhsa_exception_fp_ieee_underflow 0
		.amdhsa_exception_fp_ieee_inexact 0
		.amdhsa_exception_int_div_zero 0
	.end_amdhsa_kernel
	.section	.text._Z15mergeSinglePathIjLb0ELb0EEvPKT_jS2_jPKjPS0_j,"axG",@progbits,_Z15mergeSinglePathIjLb0ELb0EEvPKT_jS2_jPKjPS0_j,comdat
.Lfunc_end1:
	.size	_Z15mergeSinglePathIjLb0ELb0EEvPKT_jS2_jPKjPS0_j, .Lfunc_end1-_Z15mergeSinglePathIjLb0ELb0EEvPKT_jS2_jPKjPS0_j
                                        ; -- End function
	.set _Z15mergeSinglePathIjLb0ELb0EEvPKT_jS2_jPKjPS0_j.num_vgpr, 32
	.set _Z15mergeSinglePathIjLb0ELb0EEvPKT_jS2_jPKjPS0_j.num_agpr, 0
	.set _Z15mergeSinglePathIjLb0ELb0EEvPKT_jS2_jPKjPS0_j.numbered_sgpr, 22
	.set _Z15mergeSinglePathIjLb0ELb0EEvPKT_jS2_jPKjPS0_j.num_named_barrier, 0
	.set _Z15mergeSinglePathIjLb0ELb0EEvPKT_jS2_jPKjPS0_j.private_seg_size, 0
	.set _Z15mergeSinglePathIjLb0ELb0EEvPKT_jS2_jPKjPS0_j.uses_vcc, 1
	.set _Z15mergeSinglePathIjLb0ELb0EEvPKT_jS2_jPKjPS0_j.uses_flat_scratch, 0
	.set _Z15mergeSinglePathIjLb0ELb0EEvPKT_jS2_jPKjPS0_j.has_dyn_sized_stack, 0
	.set _Z15mergeSinglePathIjLb0ELb0EEvPKT_jS2_jPKjPS0_j.has_recursion, 0
	.set _Z15mergeSinglePathIjLb0ELb0EEvPKT_jS2_jPKjPS0_j.has_indirect_call, 0
	.section	.AMDGPU.csdata,"",@progbits
; Kernel info:
; codeLenInByte = 1892
; TotalNumSgprs: 26
; NumVgprs: 32
; ScratchSize: 0
; MemoryBound: 0
; FloatMode: 240
; IeeeMode: 1
; LDSByteSize: 4128 bytes/workgroup (compile time only)
; SGPRBlocks: 8
; VGPRBlocks: 7
; NumSGPRsForWavesPerEU: 65
; NumVGPRsForWavesPerEU: 32
; Occupancy: 8
; WaveLimiterHint : 1
; COMPUTE_PGM_RSRC2:SCRATCH_EN: 0
; COMPUTE_PGM_RSRC2:USER_SGPR: 6
; COMPUTE_PGM_RSRC2:TRAP_HANDLER: 0
; COMPUTE_PGM_RSRC2:TGID_X_EN: 1
; COMPUTE_PGM_RSRC2:TGID_Y_EN: 0
; COMPUTE_PGM_RSRC2:TGID_Z_EN: 0
; COMPUTE_PGM_RSRC2:TIDIG_COMP_CNT: 0
	.section	.text._Z17workloadDiagonalsIfEvPKT_jS2_jPj,"axG",@progbits,_Z17workloadDiagonalsIfEvPKT_jS2_jPj,comdat
	.protected	_Z17workloadDiagonalsIfEvPKT_jS2_jPj ; -- Begin function _Z17workloadDiagonalsIfEvPKT_jS2_jPj
	.globl	_Z17workloadDiagonalsIfEvPKT_jS2_jPj
	.p2align	8
	.type	_Z17workloadDiagonalsIfEvPKT_jS2_jPj,@function
_Z17workloadDiagonalsIfEvPKT_jS2_jPj:   ; @_Z17workloadDiagonalsIfEvPKT_jS2_jPj
; %bb.0:
	s_load_dwordx2 s[12:13], s[4:5], 0x0
	s_load_dword s31, s[4:5], 0x8
	s_load_dwordx2 s[14:15], s[4:5], 0x10
	s_load_dword s30, s[4:5], 0x18
	s_load_dwordx2 s[10:11], s[4:5], 0x20
	s_mov_b32 s8, 0
	v_cmp_ne_u32_e64 s[0:1], 0, v0
	v_cmp_eq_u32_e32 vcc, 0, v0
	s_and_saveexec_b64 s[2:3], vcc
	s_cbranch_execz .LBB2_5
; %bb.1:
	s_waitcnt lgkmcnt(0)
	s_add_u32 s18, s30, s31
	s_addc_u32 s7, 0, 0
	s_mul_i32 s9, s7, s6
	s_load_dword s7, s[4:5], 0x28
	s_mul_hi_u32 s16, s18, s6
	s_add_i32 s9, s16, s9
	s_cmp_lg_u64 s[8:9], 0
	s_mul_i32 s18, s18, s6
	s_cbranch_scc0 .LBB2_21
; %bb.2:
	s_waitcnt lgkmcnt(0)
	v_cvt_f32_u32_e32 v1, s7
	v_mov_b32_e32 v2, 0x4f800000
	s_sub_u32 s8, 0, s7
	s_subb_u32 s19, 0, 0
	v_mac_f32_e32 v1, 0, v2
	v_rcp_f32_e32 v1, v1
	v_mul_f32_e32 v1, 0x5f7ffffc, v1
	v_mul_f32_e32 v2, 0x2f800000, v1
	v_trunc_f32_e32 v2, v2
	v_madmk_f32 v1, v2, 0xcf800000, v1
	v_cvt_u32_f32_e32 v2, v2
	v_cvt_u32_f32_e32 v1, v1
	v_readfirstlane_b32 s22, v2
	v_readfirstlane_b32 s20, v1
	s_mul_i32 s21, s8, s22
	s_mul_hi_u32 s24, s8, s20
	s_mul_i32 s23, s19, s20
	s_add_i32 s21, s24, s21
	s_add_i32 s21, s21, s23
	s_mul_i32 s25, s8, s20
	s_mul_i32 s24, s20, s21
	s_mul_hi_u32 s26, s20, s25
	s_mul_hi_u32 s23, s20, s21
	s_add_u32 s24, s26, s24
	s_addc_u32 s23, 0, s23
	s_mul_hi_u32 s27, s22, s25
	s_mul_i32 s25, s22, s25
	s_add_u32 s24, s24, s25
	s_mul_hi_u32 s26, s22, s21
	s_addc_u32 s23, s23, s27
	s_addc_u32 s24, s26, 0
	s_mul_i32 s21, s22, s21
	s_add_u32 s21, s23, s21
	s_addc_u32 s23, 0, s24
	s_add_u32 s24, s20, s21
	s_cselect_b64 s[20:21], -1, 0
	s_cmp_lg_u64 s[20:21], 0
	s_addc_u32 s22, s22, s23
	s_mul_i32 s20, s8, s22
	s_mul_hi_u32 s21, s8, s24
	s_add_i32 s20, s21, s20
	s_mul_i32 s19, s19, s24
	s_add_i32 s20, s20, s19
	s_mul_i32 s8, s8, s24
	s_mul_hi_u32 s21, s22, s8
	s_mul_i32 s23, s22, s8
	s_mul_i32 s26, s24, s20
	s_mul_hi_u32 s8, s24, s8
	s_mul_hi_u32 s25, s24, s20
	s_add_u32 s8, s8, s26
	s_addc_u32 s25, 0, s25
	s_add_u32 s8, s8, s23
	s_mul_hi_u32 s19, s22, s20
	s_addc_u32 s8, s25, s21
	s_addc_u32 s19, s19, 0
	s_mul_i32 s20, s22, s20
	s_add_u32 s8, s8, s20
	s_addc_u32 s19, 0, s19
	s_add_u32 s8, s24, s8
	s_cselect_b64 s[20:21], -1, 0
	s_cmp_lg_u64 s[20:21], 0
	s_addc_u32 s19, s22, s19
	s_mul_i32 s21, s18, s19
	s_mul_hi_u32 s22, s18, s8
	s_mul_hi_u32 s20, s18, s19
	s_add_u32 s21, s22, s21
	s_addc_u32 s20, 0, s20
	s_mul_hi_u32 s23, s9, s8
	s_mul_i32 s8, s9, s8
	s_add_u32 s8, s21, s8
	s_mul_hi_u32 s22, s9, s19
	s_addc_u32 s8, s20, s23
	s_addc_u32 s20, s22, 0
	s_mul_i32 s19, s9, s19
	s_add_u32 s19, s8, s19
	s_addc_u32 s8, 0, s20
	s_mul_i32 s8, s7, s8
	s_mul_hi_u32 s20, s7, s19
	s_add_u32 s22, s19, 1
	s_add_u32 s23, s19, 2
	s_add_i32 s8, s20, s8
	s_mul_i32 s20, s7, s19
	s_sub_u32 s24, s18, s20
	s_cselect_b64 s[20:21], -1, 0
	s_cmp_lg_u64 s[20:21], 0
	s_subb_u32 s20, s9, s8
	s_sub_u32 s21, s24, s7
	s_cselect_b64 s[8:9], -1, 0
	s_cmp_lg_u64 s[8:9], 0
	s_subb_u32 s8, s20, 0
	s_cmp_ge_u32 s21, s7
	s_cselect_b32 s9, -1, 0
	s_cmp_eq_u32 s8, 0
	s_cselect_b32 s8, s9, -1
	s_cmp_lg_u32 s8, 0
	s_cselect_b32 s8, s23, s22
	s_cmp_ge_u32 s24, s7
	s_cselect_b32 s9, -1, 0
	s_cmp_eq_u32 s20, 0
	s_cselect_b32 s9, s9, -1
	s_cmp_lg_u32 s9, 0
	s_cselect_b32 s8, s8, s19
	s_cbranch_execnz .LBB2_4
.LBB2_3:
	s_waitcnt lgkmcnt(0)
	v_cvt_f32_u32_e32 v1, s7
	s_sub_i32 s8, 0, s7
	v_rcp_iflag_f32_e32 v1, v1
	v_mul_f32_e32 v1, 0x4f7ffffe, v1
	v_cvt_u32_f32_e32 v1, v1
	v_readfirstlane_b32 s9, v1
	s_mul_i32 s8, s8, s9
	s_mul_hi_u32 s8, s9, s8
	s_add_i32 s9, s9, s8
	s_mul_hi_u32 s8, s18, s9
	s_mul_i32 s16, s8, s7
	s_sub_i32 s16, s18, s16
	s_add_i32 s9, s8, 1
	s_sub_i32 s17, s16, s7
	s_cmp_ge_u32 s16, s7
	s_cselect_b32 s8, s9, s8
	s_cselect_b32 s16, s17, s16
	s_add_i32 s9, s8, 1
	s_cmp_ge_u32 s16, s7
	s_cselect_b32 s8, s9, s8
.LBB2_4:
	s_mov_b64 s[16:17], src_shared_base
	s_movk_i32 s16, 0x84
	s_waitcnt lgkmcnt(0)
	s_min_u32 s7, s31, s8
	v_mov_b32_e32 v1, s16
	v_mov_b32_e32 v2, s17
	;; [unrolled: 1-line block ×3, first 2 shown]
	flat_store_dword v[1:2], v3
	s_waitcnt vmcnt(0)
	v_mov_b32_e32 v3, s31
	s_movk_i32 s16, 0x88
	v_sub_u32_e64 v5, s8, v3 clamp
	v_mov_b32_e32 v3, s16
	v_mov_b32_e32 v4, s17
	flat_store_dword v[3:4], v5
	s_waitcnt vmcnt(0)
	flat_load_dword v5, v[3:4] glc
	s_waitcnt vmcnt(0)
	v_mov_b32_e32 v3, 0x8c
	v_mov_b32_e32 v4, s17
	s_waitcnt lgkmcnt(0)
	flat_store_dword v[3:4], v5
	s_waitcnt vmcnt(0)
	flat_load_dword v1, v[1:2] glc
	s_waitcnt vmcnt(0)
	v_mov_b32_e32 v3, 0x90
	s_waitcnt lgkmcnt(0)
	flat_store_dword v[3:4], v1
	s_waitcnt vmcnt(0)
	v_mov_b32_e32 v3, 0x80
	v_mov_b32_e32 v1, 0
	flat_store_dword v[3:4], v1
	s_waitcnt vmcnt(0)
.LBB2_5:
	s_or_b64 exec, exec, s[2:3]
	s_mov_b64 s[2:3], src_shared_base
	v_mov_b32_e32 v1, 0x80
	v_mov_b32_e32 v2, s3
	s_waitcnt lgkmcnt(0)
	s_barrier
	flat_load_dword v1, v[1:2] glc
	s_waitcnt vmcnt(0) lgkmcnt(0)
	v_cmp_ne_u32_e32 vcc, 0, v1
	s_and_saveexec_b64 s[2:3], vcc
	s_xor_b64 s[2:3], exec, s[2:3]
	s_or_saveexec_b64 s[16:17], s[2:3]
	v_mov_b32_e32 v1, s6
	s_xor_b64 exec, exec, s[16:17]
	s_cbranch_execz .LBB2_18
; %bb.6:
	s_mov_b32 s21, 0
	s_mov_b64 s[18:19], src_shared_base
	s_mov_b32 s7, s21
	s_lshl_b64 s[2:3], s[6:7], 2
	s_movk_i32 s18, 0x84
	s_add_u32 s22, s10, s2
	v_mov_b32_e32 v1, s18
	s_addc_u32 s23, s11, s3
	v_mov_b32_e32 v2, s19
	s_movk_i32 s18, 0x88
	v_lshlrev_b32_e32 v15, 2, v0
	s_add_u32 s24, s4, 40
	v_mov_b32_e32 v5, s18
	v_add_u32_e32 v16, -4, v15
	s_addc_u32 s25, s5, 0
	s_add_i32 s7, s6, 1
	v_cmp_eq_u32_e32 vcc, 16, v0
	s_mov_b64 s[26:27], 0
	v_mov_b32_e32 v3, 0x8c
	v_mov_b32_e32 v4, s19
	;; [unrolled: 1-line block ×11, first 2 shown]
	s_branch .LBB2_8
.LBB2_7:                                ;   in Loop: Header=BB2_8 Depth=1
	s_or_b64 exec, exec, s[8:9]
	s_waitcnt lgkmcnt(0)
	s_barrier
	flat_load_dword v9, v[11:12] glc
	s_waitcnt vmcnt(0) lgkmcnt(0)
	v_cmp_ne_u32_e64 s[2:3], 0, v9
	s_or_b64 s[26:27], s[2:3], s[26:27]
	s_andn2_b64 exec, exec, s[26:27]
	s_cbranch_execz .LBB2_17
.LBB2_8:                                ; =>This Inner Loop Header: Depth=1
	flat_load_dword v9, v[1:2] glc
	s_waitcnt vmcnt(0)
	flat_load_dword v13, v[1:2] glc
	s_waitcnt vmcnt(0)
	;; [unrolled: 2-line block ×5, first 2 shown]
	flat_load_dword v22, v[5:6] glc
	s_waitcnt vmcnt(0) lgkmcnt(0)
	v_sub_u32_e32 v13, v13, v14
	v_ashrrev_i32_e32 v13, 1, v13
	v_sub_u32_e32 v14, v21, v22
	v_add_u32_e32 v21, v0, v13
	v_ashrrev_i32_e32 v14, 1, v14
	v_add_u32_e32 v13, -16, v0
	v_sub_u32_e32 v9, v9, v21
	v_add3_u32 v13, v20, v13, v14
	v_add_u32_e32 v9, 16, v9
	v_cmp_lt_i32_e64 s[2:3], -1, v13
	v_cmp_gt_i32_e64 s[8:9], s31, v9
	s_and_b64 s[2:3], s[8:9], s[2:3]
	v_mov_b32_e32 v14, 0
	s_and_saveexec_b64 s[28:29], s[2:3]
	s_cbranch_execz .LBB2_12
; %bb.9:                                ;   in Loop: Header=BB2_8 Depth=1
	v_cmp_gt_i32_e64 s[2:3], s30, v13
	v_cmp_lt_i32_e64 s[8:9], 0, v9
	s_and_b64 s[2:3], s[8:9], s[2:3]
	v_mov_b32_e32 v14, 1
	s_and_saveexec_b64 s[8:9], s[2:3]
	s_cbranch_execz .LBB2_11
; %bb.10:                               ;   in Loop: Header=BB2_8 Depth=1
	v_lshlrev_b64 v[20:21], 2, v[9:10]
	v_mov_b32_e32 v14, s13
	v_add_co_u32_e64 v20, s[2:3], s12, v20
	v_addc_co_u32_e64 v21, s[2:3], v14, v21, s[2:3]
	v_mov_b32_e32 v14, v10
	global_load_dword v22, v[20:21], off offset:-4
	v_lshlrev_b64 v[20:21], 2, v[13:14]
	v_mov_b32_e32 v14, s15
	v_add_co_u32_e64 v20, s[2:3], s14, v20
	v_addc_co_u32_e64 v21, s[2:3], v14, v21, s[2:3]
	global_load_dword v14, v[20:21], off
	s_waitcnt vmcnt(0)
	v_cmp_le_f32_e64 s[2:3], v22, v14
	v_cndmask_b32_e64 v14, 0, 1, s[2:3]
.LBB2_11:                               ;   in Loop: Header=BB2_8 Depth=1
	s_or_b64 exec, exec, s[8:9]
.LBB2_12:                               ;   in Loop: Header=BB2_8 Depth=1
	s_or_b64 exec, exec, s[28:29]
	ds_write_b32 v15, v14
	s_waitcnt lgkmcnt(0)
	s_barrier
	s_and_saveexec_b64 s[8:9], s[0:1]
	s_cbranch_execz .LBB2_15
; %bb.13:                               ;   in Loop: Header=BB2_8 Depth=1
	ds_read2_b32 v[20:21], v16 offset1:1
	s_waitcnt lgkmcnt(0)
	v_cmp_ne_u32_e64 s[2:3], v21, v20
	s_and_b64 exec, exec, s[2:3]
	s_cbranch_execz .LBB2_15
; %bb.14:                               ;   in Loop: Header=BB2_8 Depth=1
	flat_store_dword v[11:12], v17
	s_waitcnt vmcnt(0)
	s_load_dword s2, s[24:25], 0x0
	global_store_dword v10, v9, s[22:23]
	s_waitcnt lgkmcnt(0)
	s_add_i32 s20, s7, s2
	s_lshl_b64 s[2:3], s[20:21], 2
	s_add_u32 s2, s10, s2
	s_addc_u32 s3, s11, s3
	global_store_dword v10, v13, s[2:3]
.LBB2_15:                               ;   in Loop: Header=BB2_8 Depth=1
	s_or_b64 exec, exec, s[8:9]
	s_waitcnt vmcnt(0)
	s_barrier
	s_and_saveexec_b64 s[8:9], vcc
	s_cbranch_execz .LBB2_7
; %bb.16:                               ;   in Loop: Header=BB2_8 Depth=1
	ds_read_b32 v14, v10 offset:124
	v_mov_b32_e32 v21, s19
	v_mov_b32_e32 v23, s19
	s_waitcnt lgkmcnt(0)
	v_cmp_eq_u32_e64 s[2:3], 0, v14
	v_cndmask_b32_e64 v20, v3, v18, s[2:3]
	v_cndmask_b32_e64 v22, v7, v19, s[2:3]
	flat_store_dword v[20:21], v9
	s_waitcnt vmcnt(0)
	flat_store_dword v[22:23], v13
	s_waitcnt vmcnt(0)
	s_branch .LBB2_7
.LBB2_17:
	s_or_b64 exec, exec, s[26:27]
	v_mov_b32_e32 v1, s6
.LBB2_18:
	s_or_b64 exec, exec, s[16:17]
	v_or_b32_e32 v0, v0, v1
	s_mov_b32 s1, 0
	v_cmp_eq_u32_e32 vcc, 0, v0
	s_and_saveexec_b64 s[2:3], vcc
	s_cbranch_execz .LBB2_20
; %bb.19:
	s_load_dword s0, s[4:5], 0x28
	s_mov_b32 s3, s1
	v_mov_b32_e32 v0, 0
	global_store_dword v0, v0, s[10:11]
	v_mov_b32_e32 v1, s31
	s_waitcnt lgkmcnt(0)
	s_add_i32 s2, s0, 1
	s_lshl_b64 s[2:3], s[2:3], 2
	s_add_u32 s2, s10, s2
	s_addc_u32 s3, s11, s3
	s_lshl_b64 s[4:5], s[0:1], 2
	global_store_dword v0, v0, s[2:3]
	s_add_u32 s2, s10, s4
	s_addc_u32 s3, s11, s5
	s_lshl_b32 s0, s0, 1
	s_lshl_b64 s[0:1], s[0:1], 2
	s_add_u32 s0, s10, s0
	global_store_dword v0, v1, s[2:3]
	s_addc_u32 s1, s11, s1
	v_mov_b32_e32 v1, s30
	global_store_dword v0, v1, s[0:1] offset:4
.LBB2_20:
	s_endpgm
.LBB2_21:
                                        ; implicit-def: $sgpr8_sgpr9
	s_branch .LBB2_3
	.section	.rodata,"a",@progbits
	.p2align	6, 0x0
	.amdhsa_kernel _Z17workloadDiagonalsIfEvPKT_jS2_jPj
		.amdhsa_group_segment_fixed_size 148
		.amdhsa_private_segment_fixed_size 0
		.amdhsa_kernarg_size 296
		.amdhsa_user_sgpr_count 6
		.amdhsa_user_sgpr_private_segment_buffer 1
		.amdhsa_user_sgpr_dispatch_ptr 0
		.amdhsa_user_sgpr_queue_ptr 0
		.amdhsa_user_sgpr_kernarg_segment_ptr 1
		.amdhsa_user_sgpr_dispatch_id 0
		.amdhsa_user_sgpr_flat_scratch_init 0
		.amdhsa_user_sgpr_private_segment_size 0
		.amdhsa_uses_dynamic_stack 0
		.amdhsa_system_sgpr_private_segment_wavefront_offset 0
		.amdhsa_system_sgpr_workgroup_id_x 1
		.amdhsa_system_sgpr_workgroup_id_y 0
		.amdhsa_system_sgpr_workgroup_id_z 0
		.amdhsa_system_sgpr_workgroup_info 0
		.amdhsa_system_vgpr_workitem_id 0
		.amdhsa_next_free_vgpr 24
		.amdhsa_next_free_sgpr 32
		.amdhsa_reserve_vcc 1
		.amdhsa_reserve_flat_scratch 0
		.amdhsa_float_round_mode_32 0
		.amdhsa_float_round_mode_16_64 0
		.amdhsa_float_denorm_mode_32 3
		.amdhsa_float_denorm_mode_16_64 3
		.amdhsa_dx10_clamp 1
		.amdhsa_ieee_mode 1
		.amdhsa_fp16_overflow 0
		.amdhsa_exception_fp_ieee_invalid_op 0
		.amdhsa_exception_fp_denorm_src 0
		.amdhsa_exception_fp_ieee_div_zero 0
		.amdhsa_exception_fp_ieee_overflow 0
		.amdhsa_exception_fp_ieee_underflow 0
		.amdhsa_exception_fp_ieee_inexact 0
		.amdhsa_exception_int_div_zero 0
	.end_amdhsa_kernel
	.section	.text._Z17workloadDiagonalsIfEvPKT_jS2_jPj,"axG",@progbits,_Z17workloadDiagonalsIfEvPKT_jS2_jPj,comdat
.Lfunc_end2:
	.size	_Z17workloadDiagonalsIfEvPKT_jS2_jPj, .Lfunc_end2-_Z17workloadDiagonalsIfEvPKT_jS2_jPj
                                        ; -- End function
	.set _Z17workloadDiagonalsIfEvPKT_jS2_jPj.num_vgpr, 24
	.set _Z17workloadDiagonalsIfEvPKT_jS2_jPj.num_agpr, 0
	.set _Z17workloadDiagonalsIfEvPKT_jS2_jPj.numbered_sgpr, 32
	.set _Z17workloadDiagonalsIfEvPKT_jS2_jPj.num_named_barrier, 0
	.set _Z17workloadDiagonalsIfEvPKT_jS2_jPj.private_seg_size, 0
	.set _Z17workloadDiagonalsIfEvPKT_jS2_jPj.uses_vcc, 1
	.set _Z17workloadDiagonalsIfEvPKT_jS2_jPj.uses_flat_scratch, 0
	.set _Z17workloadDiagonalsIfEvPKT_jS2_jPj.has_dyn_sized_stack, 0
	.set _Z17workloadDiagonalsIfEvPKT_jS2_jPj.has_recursion, 0
	.set _Z17workloadDiagonalsIfEvPKT_jS2_jPj.has_indirect_call, 0
	.section	.AMDGPU.csdata,"",@progbits
; Kernel info:
; codeLenInByte = 1684
; TotalNumSgprs: 36
; NumVgprs: 24
; ScratchSize: 0
; MemoryBound: 0
; FloatMode: 240
; IeeeMode: 1
; LDSByteSize: 148 bytes/workgroup (compile time only)
; SGPRBlocks: 4
; VGPRBlocks: 5
; NumSGPRsForWavesPerEU: 36
; NumVGPRsForWavesPerEU: 24
; Occupancy: 10
; WaveLimiterHint : 1
; COMPUTE_PGM_RSRC2:SCRATCH_EN: 0
; COMPUTE_PGM_RSRC2:USER_SGPR: 6
; COMPUTE_PGM_RSRC2:TRAP_HANDLER: 0
; COMPUTE_PGM_RSRC2:TGID_X_EN: 1
; COMPUTE_PGM_RSRC2:TGID_Y_EN: 0
; COMPUTE_PGM_RSRC2:TGID_Z_EN: 0
; COMPUTE_PGM_RSRC2:TIDIG_COMP_CNT: 0
	.section	.text._Z15mergeSinglePathIfLb0ELb0EEvPKT_jS2_jPKjPS0_j,"axG",@progbits,_Z15mergeSinglePathIfLb0ELb0EEvPKT_jS2_jPKjPS0_j,comdat
	.protected	_Z15mergeSinglePathIfLb0ELb0EEvPKT_jS2_jPKjPS0_j ; -- Begin function _Z15mergeSinglePathIfLb0ELb0EEvPKT_jS2_jPKjPS0_j
	.globl	_Z15mergeSinglePathIfLb0ELb0EEvPKT_jS2_jPKjPS0_j
	.p2align	8
	.type	_Z15mergeSinglePathIfLb0ELb0EEvPKT_jS2_jPKjPS0_j,@function
_Z15mergeSinglePathIfLb0ELb0EEvPKT_jS2_jPKjPS0_j: ; @_Z15mergeSinglePathIfLb0ELb0EEvPKT_jS2_jPKjPS0_j
; %bb.0:
	s_load_dwordx2 s[10:11], s[4:5], 0x0
	s_load_dwordx2 s[8:9], s[4:5], 0x10
	s_load_dwordx4 s[0:3], s[4:5], 0x20
	v_alignbit_b32 v1, v0, v0, 5
	v_cmp_lt_i32_e32 vcc, 1, v1
	s_and_saveexec_b64 s[12:13], vcc
	s_xor_b64 s[12:13], exec, s[12:13]
	s_cbranch_execz .LBB3_8
; %bb.1:
	v_cmp_lt_i32_e32 vcc, 2, v1
	s_and_saveexec_b64 s[14:15], vcc
	s_xor_b64 s[14:15], exec, s[14:15]
	s_cbranch_execz .LBB3_5
; %bb.2:
	v_cmp_eq_u32_e32 vcc, 3, v1
	s_and_saveexec_b64 s[16:17], vcc
	s_cbranch_execz .LBB3_4
; %bb.3:
	s_load_dword s7, s[4:5], 0x38
	s_mov_b32 s21, 0
	s_mov_b64 s[18:19], src_shared_base
	v_mov_b32_e32 v1, 0x101c
	v_mov_b32_e32 v3, 0x7f7fffff
	s_waitcnt lgkmcnt(0)
	s_add_i32 s7, s6, s7
	s_add_i32 s20, s7, 2
	s_lshl_b64 s[20:21], s[20:21], 2
	s_add_u32 s20, s0, s20
	s_addc_u32 s21, s1, s21
	s_load_dword s7, s[20:21], 0x0
	v_mov_b32_e32 v4, 0
	v_mov_b32_e32 v2, s19
	s_waitcnt lgkmcnt(0)
	v_mov_b32_e32 v5, s7
	flat_store_dword v[1:2], v5
	s_waitcnt vmcnt(0)
	ds_write_b32 v4, v3 offset:4108
.LBB3_4:
	s_or_b64 exec, exec, s[16:17]
.LBB3_5:
	s_andn2_saveexec_b64 s[14:15], s[14:15]
	s_cbranch_execz .LBB3_7
; %bb.6:
	s_load_dword s7, s[4:5], 0x38
	s_mov_b32 s19, 0
	s_mov_b64 s[16:17], src_shared_base
	v_mov_b32_e32 v1, 0x1014
	v_mov_b32_e32 v3, 0x7f7fffff
	s_waitcnt lgkmcnt(0)
	s_add_i32 s7, s6, s7
	s_add_i32 s18, s7, 1
	s_lshl_b64 s[18:19], s[18:19], 2
	s_add_u32 s18, s0, s18
	s_addc_u32 s19, s1, s19
	s_load_dword s7, s[18:19], 0x0
	v_mov_b32_e32 v4, 0
	v_mov_b32_e32 v2, s17
	s_waitcnt lgkmcnt(0)
	v_mov_b32_e32 v5, s7
	flat_store_dword v[1:2], v5
	s_waitcnt vmcnt(0)
	ds_write_b32 v4, v3 offset:2052
.LBB3_7:
	s_or_b64 exec, exec, s[14:15]
                                        ; implicit-def: $vgpr1
.LBB3_8:
	s_andn2_saveexec_b64 s[12:13], s[12:13]
	s_cbranch_execz .LBB3_16
; %bb.9:
	s_mov_b32 s17, 0
	v_cmp_lt_i32_e32 vcc, 0, v1
	s_and_saveexec_b64 s[14:15], vcc
	s_xor_b64 s[14:15], exec, s[14:15]
	s_cbranch_execz .LBB3_11
; %bb.10:
	s_add_i32 s16, s6, 1
	s_lshl_b64 s[16:17], s[16:17], 2
	s_waitcnt lgkmcnt(0)
	s_add_u32 s16, s0, s16
	s_addc_u32 s17, s1, s17
	s_load_dword s7, s[16:17], 0x0
	s_mov_b64 s[18:19], src_shared_base
	v_mov_b32_e32 v1, 0x1018
	v_mov_b32_e32 v2, s19
	;; [unrolled: 1-line block ×3, first 2 shown]
	s_waitcnt lgkmcnt(0)
	v_mov_b32_e32 v4, s7
	flat_store_dword v[1:2], v4
	s_waitcnt vmcnt(0)
	v_mov_b32_e32 v1, 0
	ds_write_b32 v1, v3 offset:2056
                                        ; implicit-def: $vgpr1
.LBB3_11:
	s_andn2_saveexec_b64 s[14:15], s[14:15]
	s_cbranch_execz .LBB3_15
; %bb.12:
	s_mov_b32 s7, 0
	v_cmp_eq_u32_e32 vcc, 0, v1
	s_and_saveexec_b64 s[16:17], vcc
	s_cbranch_execz .LBB3_14
; %bb.13:
	s_lshl_b64 s[6:7], s[6:7], 2
	s_waitcnt lgkmcnt(0)
	s_add_u32 s0, s0, s6
	s_addc_u32 s1, s1, s7
	s_load_dword s0, s[0:1], 0x0
	s_mov_b64 s[18:19], src_shared_base
	v_mov_b32_e32 v1, 0x1010
	v_mov_b32_e32 v2, s19
	v_mov_b32_e32 v3, 0x800000
	s_waitcnt lgkmcnt(0)
	v_mov_b32_e32 v4, s0
	flat_store_dword v[1:2], v4
	s_waitcnt vmcnt(0)
	v_mov_b32_e32 v1, 0
	ds_write_b32 v1, v3
.LBB3_14:
	s_or_b64 exec, exec, s[16:17]
.LBB3_15:
	s_or_b64 exec, exec, s[14:15]
.LBB3_16:
	s_or_b64 exec, exec, s[12:13]
	v_lshlrev_b32_e32 v14, 2, v0
	s_waitcnt lgkmcnt(0)
	s_movk_i32 s0, 0x7f
	v_lshlrev_b32_e32 v13, 1, v0
	v_mad_u32_u24 v16, v0, 12, v14
	v_cmp_eq_u32_e32 vcc, s0, v0
	v_mov_b32_e32 v0, s11
	v_add_co_u32_e64 v17, s[0:1], s10, v14
	v_addc_co_u32_e64 v18, s[0:1], 0, v0, s[0:1]
	s_mov_b64 s[6:7], src_shared_base
	s_add_u32 s4, s4, 56
	v_mov_b32_e32 v0, s9
	v_add_co_u32_e64 v19, s[0:1], s8, v14
	s_addc_u32 s5, s5, 0
	v_or_b32_e32 v15, 1, v13
	v_mov_b32_e32 v1, 0
	v_addc_co_u32_e64 v20, s[0:1], 0, v0, s[0:1]
	s_mov_b64 s[8:9], 0
	s_movk_i32 s6, 0x1010
	v_mov_b32_e32 v2, 0x1010
	v_mov_b32_e32 v5, s7
	v_mov_b32_e32 v3, s7
	v_mov_b32_e32 v6, 0x1018
	v_mov_b32_e32 v7, s7
	s_movk_i32 s10, 0x1014
	v_lshlrev_b32_e32 v21, 2, v14
	v_mov_b32_e32 v4, 0x1014
	v_mov_b32_e32 v8, 0x101c
	s_barrier
	s_branch .LBB3_19
.LBB3_17:                               ;   in Loop: Header=BB3_19 Depth=1
	s_or_b64 exec, exec, s[0:1]
	s_xor_b64 s[14:15], exec, -1
	s_waitcnt vmcnt(0) lgkmcnt(0)
	s_barrier
.LBB3_18:                               ;   in Loop: Header=BB3_19 Depth=1
	s_or_b64 exec, exec, s[12:13]
	s_and_b64 s[0:1], exec, s[14:15]
	s_or_b64 s[8:9], s[0:1], s[8:9]
	s_andn2_b64 exec, exec, s[8:9]
	s_cbranch_execz .LBB3_43
.LBB3_19:                               ; =>This Loop Header: Depth=1
                                        ;     Child Loop BB3_24 Depth 2
	flat_load_dword v0, v[2:3] glc
	s_waitcnt vmcnt(0)
	flat_load_dword v9, v[6:7] glc
	s_waitcnt vmcnt(0)
	s_mov_b64 s[14:15], -1
	s_mov_b64 s[16:17], -1
	s_waitcnt lgkmcnt(0)
	v_cmp_ge_u32_e64 s[0:1], v0, v9
	s_and_saveexec_b64 s[12:13], s[0:1]
	s_cbranch_execz .LBB3_21
; %bb.20:                               ;   in Loop: Header=BB3_19 Depth=1
	v_mov_b32_e32 v9, v5
	flat_load_dword v0, v[4:5] glc
	s_waitcnt vmcnt(0)
	flat_load_dword v9, v[8:9] glc
	s_waitcnt vmcnt(0) lgkmcnt(0)
	v_cmp_lt_u32_e64 s[0:1], v0, v9
	s_orn2_b64 s[16:17], s[0:1], exec
.LBB3_21:                               ;   in Loop: Header=BB3_19 Depth=1
	s_or_b64 exec, exec, s[12:13]
	s_and_saveexec_b64 s[12:13], s[16:17]
	s_cbranch_execz .LBB3_18
; %bb.22:                               ;   in Loop: Header=BB3_19 Depth=1
	v_mov_b32_e32 v11, s7
	v_mov_b32_e32 v10, s6
	s_mov_b32 s11, s7
	flat_load_dword v0, v[10:11] glc
	s_waitcnt vmcnt(0)
	v_mov_b32_e32 v23, s11
	v_mov_b32_e32 v22, s10
	flat_load_dword v24, v[22:23] glc
	s_waitcnt vmcnt(0)
	s_load_dword s0, s[4:5], 0xc
	v_mov_b32_e32 v25, v1
	s_mov_b64 s[14:15], 0
	s_mov_b64 s[18:19], 0
                                        ; implicit-def: $sgpr16_sgpr17
	s_waitcnt lgkmcnt(0)
	s_and_b32 s0, s0, 0xffff
	s_lshl_b32 s11, s0, 2
	v_lshlrev_b64 v[26:27], 2, v[0:1]
	v_add_co_u32_e64 v26, s[0:1], v17, v26
	v_lshlrev_b64 v[24:25], 2, v[24:25]
	v_addc_co_u32_e64 v27, s[0:1], v18, v27, s[0:1]
	v_add_co_u32_e64 v24, s[0:1], v19, v24
	v_addc_co_u32_e64 v25, s[0:1], v20, v25, s[0:1]
	global_load_dword v0, v[26:27], off
	v_add_co_u32_e64 v26, s[0:1], s11, v26
	v_addc_co_u32_e64 v27, s[0:1], 0, v27, s[0:1]
	global_load_dword v9, v[24:25], off
	global_load_dword v12, v[26:27], off
	v_add_co_u32_e64 v24, s[0:1], s11, v24
	v_addc_co_u32_e64 v25, s[0:1], 0, v25, s[0:1]
	v_add_co_u32_e64 v26, s[0:1], s11, v26
	v_addc_co_u32_e64 v27, s[0:1], 0, v27, s[0:1]
	global_load_dword v28, v[24:25], off
	global_load_dword v29, v[26:27], off
	v_add_co_u32_e64 v24, s[0:1], s11, v24
	v_addc_co_u32_e64 v25, s[0:1], 0, v25, s[0:1]
	;; [unrolled: 6-line block ×3, first 2 shown]
	global_load_dword v24, v[24:25], off
	v_add_u32_e32 v25, s11, v14
	v_add_u32_e32 v26, s11, v25
	v_add_u32_e32 v27, s11, v26
	s_waitcnt vmcnt(7)
	ds_write_b32 v14, v0 offset:4
	s_waitcnt vmcnt(6)
	ds_write_b32 v14, v9 offset:2060
	;; [unrolled: 2-line block ×8, first 2 shown]
	flat_load_dword v0, v[10:11] glc
	s_waitcnt vmcnt(0)
	flat_load_dword v9, v[22:23] glc
	s_waitcnt vmcnt(0)
	v_mov_b32_e32 v12, v13
	v_mov_b32_e32 v23, v15
	s_waitcnt lgkmcnt(0)
	s_barrier
	s_branch .LBB3_24
.LBB3_23:                               ;   in Loop: Header=BB3_24 Depth=2
	s_or_b64 exec, exec, s[18:19]
	s_and_b64 s[0:1], exec, s[16:17]
	s_or_b64 s[14:15], s[0:1], s[14:15]
	s_mov_b64 s[18:19], 0
                                        ; implicit-def: $sgpr16_sgpr17
	s_andn2_b64 exec, exec, s[14:15]
	s_cbranch_execz .LBB3_29
.LBB3_24:                               ;   Parent Loop BB3_19 Depth=1
                                        ; =>  This Inner Loop Header: Depth=2
	v_mov_b32_e32 v10, v23
	v_lshlrev_b32_e32 v22, 2, v10
	v_not_b32_e32 v11, v10
	v_lshl_add_u32 v24, v11, 2, v16
	ds_read_b32 v11, v22
	ds_read_b32 v23, v24 offset:2064
	v_add_u32_e32 v12, 1, v12
	v_lshrrev_b32_e32 v12, 1, v12
	s_or_b64 s[16:17], s[16:17], exec
	s_waitcnt lgkmcnt(0)
	v_cmp_ngt_f32_e64 s[0:1], v11, v23
                                        ; implicit-def: $vgpr23
	s_and_saveexec_b64 s[20:21], s[0:1]
; %bb.25:                               ;   in Loop: Header=BB3_24 Depth=2
	v_add_u32_e32 v23, v12, v10
	s_andn2_b64 s[16:17], s[16:17], exec
; %bb.26:                               ;   in Loop: Header=BB3_24 Depth=2
	s_or_b64 exec, exec, s[20:21]
	s_and_b64 s[0:1], exec, s[16:17]
	s_or_b64 s[18:19], s[0:1], s[18:19]
	s_andn2_b64 exec, exec, s[18:19]
	s_cbranch_execnz .LBB3_24
; %bb.27:                               ;   in Loop: Header=BB3_24 Depth=2
	s_or_b64 exec, exec, s[18:19]
	v_add_u32_e32 v23, -4, v22
	ds_read_b32 v23, v23
	ds_read_b32 v24, v24 offset:2068
	s_mov_b64 s[16:17], -1
	s_waitcnt lgkmcnt(0)
	v_cmp_nle_f32_e64 s[0:1], v23, v24
                                        ; implicit-def: $vgpr23
	s_and_saveexec_b64 s[18:19], s[0:1]
	s_cbranch_execz .LBB3_23
; %bb.28:                               ;   in Loop: Header=BB3_24 Depth=2
	v_sub_u32_e32 v23, v10, v12
	s_xor_b64 s[16:17], exec, -1
	s_branch .LBB3_23
.LBB3_29:                               ;   in Loop: Header=BB3_19 Depth=1
	s_or_b64 exec, exec, s[14:15]
	v_sub_u32_e32 v12, v14, v10
	v_lshlrev_b32_e32 v26, 2, v12
	ds_read_b32 v25, v26 offset:2064
                                        ; implicit-def: $vgpr12
                                        ; implicit-def: $vgpr23
	s_waitcnt lgkmcnt(0)
	v_cmp_ngt_f32_e64 s[0:1], v11, v25
	s_and_saveexec_b64 s[14:15], s[0:1]
	s_xor_b64 s[0:1], exec, s[14:15]
; %bb.30:                               ;   in Loop: Header=BB3_19 Depth=1
	ds_read_b32 v12, v22 offset:4
	v_add_u32_e32 v23, 1, v10
                                        ; implicit-def: $vgpr26
; %bb.31:                               ;   in Loop: Header=BB3_19 Depth=1
	s_or_saveexec_b64 s[0:1], s[0:1]
	v_or_b32_e32 v22, 2, v14
	v_sub_u32_e32 v22, v22, v10
	v_mov_b32_e32 v24, v25
	s_xor_b64 exec, exec, s[0:1]
	s_cbranch_execz .LBB3_33
; %bb.32:                               ;   in Loop: Header=BB3_19 Depth=1
	ds_read_b32 v24, v26 offset:2068
	v_add_u32_e32 v22, 1, v22
	v_mov_b32_e32 v23, v10
	s_waitcnt lgkmcnt(1)
	v_mov_b32_e32 v12, v11
	v_mov_b32_e32 v11, v25
.LBB3_33:                               ;   in Loop: Header=BB3_19 Depth=1
	s_or_b64 exec, exec, s[0:1]
	v_lshlrev_b64 v[25:26], 2, v[0:1]
	v_mov_b32_e32 v10, v1
	v_mov_b32_e32 v0, s3
	v_add_co_u32_e64 v25, s[0:1], s2, v25
	v_lshlrev_b64 v[9:10], 2, v[9:10]
	v_addc_co_u32_e64 v0, s[0:1], v0, v26, s[0:1]
	v_add_co_u32_e64 v9, s[0:1], v25, v9
	v_addc_co_u32_e64 v0, s[0:1], v0, v10, s[0:1]
	v_add_co_u32_e64 v9, s[0:1], v9, v21
	v_addc_co_u32_e64 v10, s[0:1], 0, v0, s[0:1]
	s_waitcnt lgkmcnt(0)
	v_cmp_ngt_f32_e64 s[0:1], v12, v24
	global_store_dword v[9:10], v11, off
                                        ; implicit-def: $vgpr11
                                        ; implicit-def: $vgpr0
	s_and_saveexec_b64 s[14:15], s[0:1]
	s_xor_b64 s[0:1], exec, s[14:15]
; %bb.34:                               ;   in Loop: Header=BB3_19 Depth=1
	v_lshlrev_b32_e32 v0, 2, v23
	ds_read_b32 v11, v0 offset:4
	v_add_u32_e32 v0, 1, v23
                                        ; implicit-def: $vgpr23
; %bb.35:                               ;   in Loop: Header=BB3_19 Depth=1
	s_or_saveexec_b64 s[0:1], s[0:1]
	v_mov_b32_e32 v25, v24
	s_xor_b64 exec, exec, s[0:1]
	s_cbranch_execz .LBB3_37
; %bb.36:                               ;   in Loop: Header=BB3_19 Depth=1
	v_lshlrev_b32_e32 v0, 2, v22
	ds_read_b32 v25, v0 offset:2060
	s_waitcnt lgkmcnt(1)
	v_add_u32_e32 v11, 1, v22
	v_mov_b32_e32 v0, v23
	v_mov_b32_e32 v22, v11
	;; [unrolled: 1-line block ×4, first 2 shown]
.LBB3_37:                               ;   in Loop: Header=BB3_19 Depth=1
	s_or_b64 exec, exec, s[0:1]
	s_waitcnt lgkmcnt(0)
	v_cmp_ngt_f32_e64 s[0:1], v11, v25
	global_store_dword v[9:10], v12, off offset:4
                                        ; implicit-def: $vgpr12
	s_and_saveexec_b64 s[14:15], s[0:1]
	s_xor_b64 s[0:1], exec, s[14:15]
; %bb.38:                               ;   in Loop: Header=BB3_19 Depth=1
	v_lshlrev_b32_e32 v12, 2, v0
	ds_read_b32 v12, v12 offset:4
	v_add_u32_e32 v22, -1, v22
; %bb.39:                               ;   in Loop: Header=BB3_19 Depth=1
	s_or_saveexec_b64 s[0:1], s[0:1]
	v_mov_b32_e32 v23, v25
	s_xor_b64 exec, exec, s[0:1]
	s_cbranch_execz .LBB3_41
; %bb.40:                               ;   in Loop: Header=BB3_19 Depth=1
	s_waitcnt lgkmcnt(0)
	v_lshlrev_b32_e32 v12, 2, v22
	ds_read_b32 v23, v12 offset:2060
	v_add_u32_e32 v0, -1, v0
	v_mov_b32_e32 v12, v11
	v_mov_b32_e32 v11, v25
.LBB3_41:                               ;   in Loop: Header=BB3_19 Depth=1
	s_or_b64 exec, exec, s[0:1]
	s_waitcnt lgkmcnt(0)
	v_cmp_gt_f32_e64 s[0:1], v12, v23
	v_cndmask_b32_e64 v12, v12, v23, s[0:1]
	global_store_dwordx2 v[9:10], v[11:12], off offset:8
	s_and_saveexec_b64 s[0:1], vcc
	s_cbranch_execz .LBB3_17
; %bb.42:                               ;   in Loop: Header=BB3_19 Depth=1
	v_mov_b32_e32 v10, s7
	v_mov_b32_e32 v9, s6
	flat_load_dword v11, v[9:10] glc
	s_waitcnt vmcnt(0)
	s_mov_b32 s11, s7
	s_waitcnt lgkmcnt(0)
	v_add_u32_e32 v0, v11, v0
	flat_store_dword v[9:10], v0
	s_waitcnt vmcnt(0)
	v_mov_b32_e32 v9, s10
	v_mov_b32_e32 v10, s11
	flat_load_dword v0, v[9:10] glc
	s_waitcnt vmcnt(0) lgkmcnt(0)
	v_add_u32_e32 v0, v0, v22
	flat_store_dword v[9:10], v0
	s_waitcnt vmcnt(0)
	s_branch .LBB3_17
.LBB3_43:
	s_endpgm
	.section	.rodata,"a",@progbits
	.p2align	6, 0x0
	.amdhsa_kernel _Z15mergeSinglePathIfLb0ELb0EEvPKT_jS2_jPKjPS0_j
		.amdhsa_group_segment_fixed_size 4128
		.amdhsa_private_segment_fixed_size 0
		.amdhsa_kernarg_size 312
		.amdhsa_user_sgpr_count 6
		.amdhsa_user_sgpr_private_segment_buffer 1
		.amdhsa_user_sgpr_dispatch_ptr 0
		.amdhsa_user_sgpr_queue_ptr 0
		.amdhsa_user_sgpr_kernarg_segment_ptr 1
		.amdhsa_user_sgpr_dispatch_id 0
		.amdhsa_user_sgpr_flat_scratch_init 0
		.amdhsa_user_sgpr_private_segment_size 0
		.amdhsa_uses_dynamic_stack 0
		.amdhsa_system_sgpr_private_segment_wavefront_offset 0
		.amdhsa_system_sgpr_workgroup_id_x 1
		.amdhsa_system_sgpr_workgroup_id_y 0
		.amdhsa_system_sgpr_workgroup_id_z 0
		.amdhsa_system_sgpr_workgroup_info 0
		.amdhsa_system_vgpr_workitem_id 0
		.amdhsa_next_free_vgpr 32
		.amdhsa_next_free_sgpr 61
		.amdhsa_reserve_vcc 1
		.amdhsa_reserve_flat_scratch 0
		.amdhsa_float_round_mode_32 0
		.amdhsa_float_round_mode_16_64 0
		.amdhsa_float_denorm_mode_32 3
		.amdhsa_float_denorm_mode_16_64 3
		.amdhsa_dx10_clamp 1
		.amdhsa_ieee_mode 1
		.amdhsa_fp16_overflow 0
		.amdhsa_exception_fp_ieee_invalid_op 0
		.amdhsa_exception_fp_denorm_src 0
		.amdhsa_exception_fp_ieee_div_zero 0
		.amdhsa_exception_fp_ieee_overflow 0
		.amdhsa_exception_fp_ieee_underflow 0
		.amdhsa_exception_fp_ieee_inexact 0
		.amdhsa_exception_int_div_zero 0
	.end_amdhsa_kernel
	.section	.text._Z15mergeSinglePathIfLb0ELb0EEvPKT_jS2_jPKjPS0_j,"axG",@progbits,_Z15mergeSinglePathIfLb0ELb0EEvPKT_jS2_jPKjPS0_j,comdat
.Lfunc_end3:
	.size	_Z15mergeSinglePathIfLb0ELb0EEvPKT_jS2_jPKjPS0_j, .Lfunc_end3-_Z15mergeSinglePathIfLb0ELb0EEvPKT_jS2_jPKjPS0_j
                                        ; -- End function
	.set _Z15mergeSinglePathIfLb0ELb0EEvPKT_jS2_jPKjPS0_j.num_vgpr, 32
	.set _Z15mergeSinglePathIfLb0ELb0EEvPKT_jS2_jPKjPS0_j.num_agpr, 0
	.set _Z15mergeSinglePathIfLb0ELb0EEvPKT_jS2_jPKjPS0_j.numbered_sgpr, 22
	.set _Z15mergeSinglePathIfLb0ELb0EEvPKT_jS2_jPKjPS0_j.num_named_barrier, 0
	.set _Z15mergeSinglePathIfLb0ELb0EEvPKT_jS2_jPKjPS0_j.private_seg_size, 0
	.set _Z15mergeSinglePathIfLb0ELb0EEvPKT_jS2_jPKjPS0_j.uses_vcc, 1
	.set _Z15mergeSinglePathIfLb0ELb0EEvPKT_jS2_jPKjPS0_j.uses_flat_scratch, 0
	.set _Z15mergeSinglePathIfLb0ELb0EEvPKT_jS2_jPKjPS0_j.has_dyn_sized_stack, 0
	.set _Z15mergeSinglePathIfLb0ELb0EEvPKT_jS2_jPKjPS0_j.has_recursion, 0
	.set _Z15mergeSinglePathIfLb0ELb0EEvPKT_jS2_jPKjPS0_j.has_indirect_call, 0
	.section	.AMDGPU.csdata,"",@progbits
; Kernel info:
; codeLenInByte = 1928
; TotalNumSgprs: 26
; NumVgprs: 32
; ScratchSize: 0
; MemoryBound: 0
; FloatMode: 240
; IeeeMode: 1
; LDSByteSize: 4128 bytes/workgroup (compile time only)
; SGPRBlocks: 8
; VGPRBlocks: 7
; NumSGPRsForWavesPerEU: 65
; NumVGPRsForWavesPerEU: 32
; Occupancy: 8
; WaveLimiterHint : 1
; COMPUTE_PGM_RSRC2:SCRATCH_EN: 0
; COMPUTE_PGM_RSRC2:USER_SGPR: 6
; COMPUTE_PGM_RSRC2:TRAP_HANDLER: 0
; COMPUTE_PGM_RSRC2:TGID_X_EN: 1
; COMPUTE_PGM_RSRC2:TGID_Y_EN: 0
; COMPUTE_PGM_RSRC2:TGID_Z_EN: 0
; COMPUTE_PGM_RSRC2:TIDIG_COMP_CNT: 0
	.section	.text._Z17workloadDiagonalsImEvPKT_jS2_jPj,"axG",@progbits,_Z17workloadDiagonalsImEvPKT_jS2_jPj,comdat
	.protected	_Z17workloadDiagonalsImEvPKT_jS2_jPj ; -- Begin function _Z17workloadDiagonalsImEvPKT_jS2_jPj
	.globl	_Z17workloadDiagonalsImEvPKT_jS2_jPj
	.p2align	8
	.type	_Z17workloadDiagonalsImEvPKT_jS2_jPj,@function
_Z17workloadDiagonalsImEvPKT_jS2_jPj:   ; @_Z17workloadDiagonalsImEvPKT_jS2_jPj
; %bb.0:
	s_load_dwordx2 s[12:13], s[4:5], 0x0
	s_load_dword s31, s[4:5], 0x8
	s_load_dwordx2 s[14:15], s[4:5], 0x10
	s_load_dword s30, s[4:5], 0x18
	s_load_dwordx2 s[10:11], s[4:5], 0x20
	s_mov_b32 s8, 0
	v_cmp_ne_u32_e64 s[0:1], 0, v0
	v_cmp_eq_u32_e32 vcc, 0, v0
	s_and_saveexec_b64 s[2:3], vcc
	s_cbranch_execz .LBB4_5
; %bb.1:
	s_waitcnt lgkmcnt(0)
	s_add_u32 s18, s30, s31
	s_addc_u32 s7, 0, 0
	s_mul_i32 s9, s7, s6
	s_load_dword s7, s[4:5], 0x28
	s_mul_hi_u32 s16, s18, s6
	s_add_i32 s9, s16, s9
	s_cmp_lg_u64 s[8:9], 0
	s_mul_i32 s18, s18, s6
	s_cbranch_scc0 .LBB4_21
; %bb.2:
	s_waitcnt lgkmcnt(0)
	v_cvt_f32_u32_e32 v1, s7
	v_mov_b32_e32 v2, 0x4f800000
	s_sub_u32 s8, 0, s7
	s_subb_u32 s19, 0, 0
	v_mac_f32_e32 v1, 0, v2
	v_rcp_f32_e32 v1, v1
	v_mul_f32_e32 v1, 0x5f7ffffc, v1
	v_mul_f32_e32 v2, 0x2f800000, v1
	v_trunc_f32_e32 v2, v2
	v_madmk_f32 v1, v2, 0xcf800000, v1
	v_cvt_u32_f32_e32 v2, v2
	v_cvt_u32_f32_e32 v1, v1
	v_readfirstlane_b32 s22, v2
	v_readfirstlane_b32 s20, v1
	s_mul_i32 s21, s8, s22
	s_mul_hi_u32 s24, s8, s20
	s_mul_i32 s23, s19, s20
	s_add_i32 s21, s24, s21
	s_add_i32 s21, s21, s23
	s_mul_i32 s25, s8, s20
	s_mul_i32 s24, s20, s21
	s_mul_hi_u32 s26, s20, s25
	s_mul_hi_u32 s23, s20, s21
	s_add_u32 s24, s26, s24
	s_addc_u32 s23, 0, s23
	s_mul_hi_u32 s27, s22, s25
	s_mul_i32 s25, s22, s25
	s_add_u32 s24, s24, s25
	s_mul_hi_u32 s26, s22, s21
	s_addc_u32 s23, s23, s27
	s_addc_u32 s24, s26, 0
	s_mul_i32 s21, s22, s21
	s_add_u32 s21, s23, s21
	s_addc_u32 s23, 0, s24
	s_add_u32 s24, s20, s21
	s_cselect_b64 s[20:21], -1, 0
	s_cmp_lg_u64 s[20:21], 0
	s_addc_u32 s22, s22, s23
	s_mul_i32 s20, s8, s22
	s_mul_hi_u32 s21, s8, s24
	s_add_i32 s20, s21, s20
	s_mul_i32 s19, s19, s24
	s_add_i32 s20, s20, s19
	s_mul_i32 s8, s8, s24
	s_mul_hi_u32 s21, s22, s8
	s_mul_i32 s23, s22, s8
	s_mul_i32 s26, s24, s20
	s_mul_hi_u32 s8, s24, s8
	s_mul_hi_u32 s25, s24, s20
	s_add_u32 s8, s8, s26
	s_addc_u32 s25, 0, s25
	s_add_u32 s8, s8, s23
	s_mul_hi_u32 s19, s22, s20
	s_addc_u32 s8, s25, s21
	s_addc_u32 s19, s19, 0
	s_mul_i32 s20, s22, s20
	s_add_u32 s8, s8, s20
	s_addc_u32 s19, 0, s19
	s_add_u32 s8, s24, s8
	s_cselect_b64 s[20:21], -1, 0
	s_cmp_lg_u64 s[20:21], 0
	s_addc_u32 s19, s22, s19
	s_mul_i32 s21, s18, s19
	s_mul_hi_u32 s22, s18, s8
	s_mul_hi_u32 s20, s18, s19
	s_add_u32 s21, s22, s21
	s_addc_u32 s20, 0, s20
	s_mul_hi_u32 s23, s9, s8
	s_mul_i32 s8, s9, s8
	s_add_u32 s8, s21, s8
	s_mul_hi_u32 s22, s9, s19
	s_addc_u32 s8, s20, s23
	s_addc_u32 s20, s22, 0
	s_mul_i32 s19, s9, s19
	s_add_u32 s19, s8, s19
	s_addc_u32 s8, 0, s20
	s_mul_i32 s8, s7, s8
	s_mul_hi_u32 s20, s7, s19
	s_add_u32 s22, s19, 1
	s_add_u32 s23, s19, 2
	s_add_i32 s8, s20, s8
	s_mul_i32 s20, s7, s19
	s_sub_u32 s24, s18, s20
	s_cselect_b64 s[20:21], -1, 0
	s_cmp_lg_u64 s[20:21], 0
	s_subb_u32 s20, s9, s8
	s_sub_u32 s21, s24, s7
	s_cselect_b64 s[8:9], -1, 0
	s_cmp_lg_u64 s[8:9], 0
	s_subb_u32 s8, s20, 0
	s_cmp_ge_u32 s21, s7
	s_cselect_b32 s9, -1, 0
	s_cmp_eq_u32 s8, 0
	s_cselect_b32 s8, s9, -1
	s_cmp_lg_u32 s8, 0
	s_cselect_b32 s8, s23, s22
	s_cmp_ge_u32 s24, s7
	s_cselect_b32 s9, -1, 0
	s_cmp_eq_u32 s20, 0
	s_cselect_b32 s9, s9, -1
	s_cmp_lg_u32 s9, 0
	s_cselect_b32 s8, s8, s19
	s_cbranch_execnz .LBB4_4
.LBB4_3:
	s_waitcnt lgkmcnt(0)
	v_cvt_f32_u32_e32 v1, s7
	s_sub_i32 s8, 0, s7
	v_rcp_iflag_f32_e32 v1, v1
	v_mul_f32_e32 v1, 0x4f7ffffe, v1
	v_cvt_u32_f32_e32 v1, v1
	v_readfirstlane_b32 s9, v1
	s_mul_i32 s8, s8, s9
	s_mul_hi_u32 s8, s9, s8
	s_add_i32 s9, s9, s8
	s_mul_hi_u32 s8, s18, s9
	s_mul_i32 s16, s8, s7
	s_sub_i32 s16, s18, s16
	s_add_i32 s9, s8, 1
	s_sub_i32 s17, s16, s7
	s_cmp_ge_u32 s16, s7
	s_cselect_b32 s8, s9, s8
	s_cselect_b32 s16, s17, s16
	s_add_i32 s9, s8, 1
	s_cmp_ge_u32 s16, s7
	s_cselect_b32 s8, s9, s8
.LBB4_4:
	s_mov_b64 s[16:17], src_shared_base
	s_movk_i32 s16, 0x84
	s_waitcnt lgkmcnt(0)
	s_min_u32 s7, s31, s8
	v_mov_b32_e32 v1, s16
	v_mov_b32_e32 v2, s17
	;; [unrolled: 1-line block ×3, first 2 shown]
	flat_store_dword v[1:2], v3
	s_waitcnt vmcnt(0)
	v_mov_b32_e32 v3, s31
	s_movk_i32 s16, 0x88
	v_sub_u32_e64 v5, s8, v3 clamp
	v_mov_b32_e32 v3, s16
	v_mov_b32_e32 v4, s17
	flat_store_dword v[3:4], v5
	s_waitcnt vmcnt(0)
	flat_load_dword v5, v[3:4] glc
	s_waitcnt vmcnt(0)
	v_mov_b32_e32 v3, 0x8c
	v_mov_b32_e32 v4, s17
	s_waitcnt lgkmcnt(0)
	flat_store_dword v[3:4], v5
	s_waitcnt vmcnt(0)
	flat_load_dword v1, v[1:2] glc
	s_waitcnt vmcnt(0)
	v_mov_b32_e32 v3, 0x90
	s_waitcnt lgkmcnt(0)
	flat_store_dword v[3:4], v1
	s_waitcnt vmcnt(0)
	v_mov_b32_e32 v3, 0x80
	v_mov_b32_e32 v1, 0
	flat_store_dword v[3:4], v1
	s_waitcnt vmcnt(0)
.LBB4_5:
	s_or_b64 exec, exec, s[2:3]
	s_mov_b64 s[2:3], src_shared_base
	v_mov_b32_e32 v1, 0x80
	v_mov_b32_e32 v2, s3
	s_waitcnt lgkmcnt(0)
	s_barrier
	flat_load_dword v1, v[1:2] glc
	s_waitcnt vmcnt(0) lgkmcnt(0)
	v_cmp_ne_u32_e32 vcc, 0, v1
	s_and_saveexec_b64 s[2:3], vcc
	s_xor_b64 s[2:3], exec, s[2:3]
	s_or_saveexec_b64 s[16:17], s[2:3]
	v_mov_b32_e32 v1, s6
	s_xor_b64 exec, exec, s[16:17]
	s_cbranch_execz .LBB4_18
; %bb.6:
	s_mov_b32 s21, 0
	s_mov_b64 s[18:19], src_shared_base
	s_mov_b32 s7, s21
	s_lshl_b64 s[2:3], s[6:7], 2
	s_movk_i32 s18, 0x84
	s_add_u32 s22, s10, s2
	v_mov_b32_e32 v1, s18
	s_addc_u32 s23, s11, s3
	v_mov_b32_e32 v2, s19
	s_movk_i32 s18, 0x88
	s_add_u32 s24, s4, 40
	v_mov_b32_e32 v5, s18
	v_lshlrev_b32_e32 v15, 2, v0
	s_addc_u32 s25, s5, 0
	s_add_i32 s7, s6, 1
	v_cmp_eq_u32_e32 vcc, 16, v0
	s_mov_b64 s[26:27], 0
	v_mov_b32_e32 v3, 0x8c
	v_mov_b32_e32 v4, s19
	;; [unrolled: 1-line block ×11, first 2 shown]
	s_branch .LBB4_8
.LBB4_7:                                ;   in Loop: Header=BB4_8 Depth=1
	s_or_b64 exec, exec, s[8:9]
	s_waitcnt lgkmcnt(0)
	s_barrier
	flat_load_dword v9, v[11:12] glc
	s_waitcnt vmcnt(0) lgkmcnt(0)
	v_cmp_ne_u32_e64 s[2:3], 0, v9
	s_or_b64 s[26:27], s[2:3], s[26:27]
	s_andn2_b64 exec, exec, s[26:27]
	s_cbranch_execz .LBB4_17
.LBB4_8:                                ; =>This Inner Loop Header: Depth=1
	flat_load_dword v9, v[1:2] glc
	s_waitcnt vmcnt(0)
	flat_load_dword v13, v[1:2] glc
	s_waitcnt vmcnt(0)
	;; [unrolled: 2-line block ×6, first 2 shown]
	v_add_u32_e32 v22, -16, v0
	s_waitcnt lgkmcnt(0)
	v_sub_u32_e32 v13, v13, v14
	v_ashrrev_i32_e32 v13, 1, v13
	v_sub_u32_e32 v14, v20, v21
	v_add_u32_e32 v20, v0, v13
	v_ashrrev_i32_e32 v14, 1, v14
	v_sub_u32_e32 v9, v9, v20
	v_add3_u32 v13, v19, v22, v14
	v_add_u32_e32 v9, 16, v9
	v_cmp_lt_i32_e64 s[2:3], -1, v13
	v_cmp_gt_i32_e64 s[8:9], s31, v9
	s_and_b64 s[2:3], s[8:9], s[2:3]
	v_mov_b32_e32 v14, 0
	s_and_saveexec_b64 s[28:29], s[2:3]
	s_cbranch_execz .LBB4_12
; %bb.9:                                ;   in Loop: Header=BB4_8 Depth=1
	v_cmp_gt_i32_e64 s[2:3], s30, v13
	v_cmp_lt_i32_e64 s[8:9], 0, v9
	s_and_b64 s[2:3], s[8:9], s[2:3]
	v_mov_b32_e32 v14, 1
	s_and_saveexec_b64 s[8:9], s[2:3]
	s_cbranch_execz .LBB4_11
; %bb.10:                               ;   in Loop: Header=BB4_8 Depth=1
	v_lshlrev_b64 v[19:20], 3, v[9:10]
	v_mov_b32_e32 v14, s13
	v_add_co_u32_e64 v19, s[2:3], s12, v19
	v_addc_co_u32_e64 v20, s[2:3], v14, v20, s[2:3]
	v_mov_b32_e32 v14, v10
	v_lshlrev_b64 v[21:22], 3, v[13:14]
	v_mov_b32_e32 v14, s15
	v_add_co_u32_e64 v21, s[2:3], s14, v21
	v_addc_co_u32_e64 v22, s[2:3], v14, v22, s[2:3]
	global_load_dwordx2 v[19:20], v[19:20], off offset:-8
	s_nop 0
	global_load_dwordx2 v[21:22], v[21:22], off
	s_waitcnt vmcnt(0)
	v_cmp_le_u64_e64 s[2:3], v[19:20], v[21:22]
	v_cndmask_b32_e64 v14, 0, 1, s[2:3]
.LBB4_11:                               ;   in Loop: Header=BB4_8 Depth=1
	s_or_b64 exec, exec, s[8:9]
.LBB4_12:                               ;   in Loop: Header=BB4_8 Depth=1
	s_or_b64 exec, exec, s[28:29]
	ds_write_b32 v15, v14
	s_waitcnt lgkmcnt(0)
	s_barrier
	s_and_saveexec_b64 s[8:9], s[0:1]
	s_cbranch_execz .LBB4_15
; %bb.13:                               ;   in Loop: Header=BB4_8 Depth=1
	v_add_u32_e32 v14, -4, v15
	ds_read2_b32 v[19:20], v14 offset1:1
	s_waitcnt lgkmcnt(0)
	v_cmp_ne_u32_e64 s[2:3], v20, v19
	s_and_b64 exec, exec, s[2:3]
	s_cbranch_execz .LBB4_15
; %bb.14:                               ;   in Loop: Header=BB4_8 Depth=1
	flat_store_dword v[11:12], v16
	s_waitcnt vmcnt(0)
	s_load_dword s2, s[24:25], 0x0
	global_store_dword v10, v9, s[22:23]
	s_waitcnt lgkmcnt(0)
	s_add_i32 s20, s7, s2
	s_lshl_b64 s[2:3], s[20:21], 2
	s_add_u32 s2, s10, s2
	s_addc_u32 s3, s11, s3
	global_store_dword v10, v13, s[2:3]
.LBB4_15:                               ;   in Loop: Header=BB4_8 Depth=1
	s_or_b64 exec, exec, s[8:9]
	s_waitcnt vmcnt(0)
	s_barrier
	s_and_saveexec_b64 s[8:9], vcc
	s_cbranch_execz .LBB4_7
; %bb.16:                               ;   in Loop: Header=BB4_8 Depth=1
	ds_read_b32 v14, v10 offset:124
	v_mov_b32_e32 v20, s19
	v_mov_b32_e32 v22, s19
	s_waitcnt lgkmcnt(0)
	v_cmp_eq_u32_e64 s[2:3], 0, v14
	v_cndmask_b32_e64 v19, v3, v17, s[2:3]
	v_cndmask_b32_e64 v21, v7, v18, s[2:3]
	flat_store_dword v[19:20], v9
	s_waitcnt vmcnt(0)
	flat_store_dword v[21:22], v13
	s_waitcnt vmcnt(0)
	s_branch .LBB4_7
.LBB4_17:
	s_or_b64 exec, exec, s[26:27]
	v_mov_b32_e32 v1, s6
.LBB4_18:
	s_or_b64 exec, exec, s[16:17]
	v_or_b32_e32 v0, v0, v1
	s_mov_b32 s1, 0
	v_cmp_eq_u32_e32 vcc, 0, v0
	s_and_saveexec_b64 s[2:3], vcc
	s_cbranch_execz .LBB4_20
; %bb.19:
	s_load_dword s0, s[4:5], 0x28
	s_mov_b32 s3, s1
	v_mov_b32_e32 v0, 0
	global_store_dword v0, v0, s[10:11]
	v_mov_b32_e32 v1, s31
	s_waitcnt lgkmcnt(0)
	s_add_i32 s2, s0, 1
	s_lshl_b64 s[2:3], s[2:3], 2
	s_add_u32 s2, s10, s2
	s_addc_u32 s3, s11, s3
	s_lshl_b64 s[4:5], s[0:1], 2
	global_store_dword v0, v0, s[2:3]
	s_add_u32 s2, s10, s4
	s_addc_u32 s3, s11, s5
	s_lshl_b32 s0, s0, 1
	s_lshl_b64 s[0:1], s[0:1], 2
	s_add_u32 s0, s10, s0
	global_store_dword v0, v1, s[2:3]
	s_addc_u32 s1, s11, s1
	v_mov_b32_e32 v1, s30
	global_store_dword v0, v1, s[0:1] offset:4
.LBB4_20:
	s_endpgm
.LBB4_21:
                                        ; implicit-def: $sgpr8_sgpr9
	s_branch .LBB4_3
	.section	.rodata,"a",@progbits
	.p2align	6, 0x0
	.amdhsa_kernel _Z17workloadDiagonalsImEvPKT_jS2_jPj
		.amdhsa_group_segment_fixed_size 148
		.amdhsa_private_segment_fixed_size 0
		.amdhsa_kernarg_size 296
		.amdhsa_user_sgpr_count 6
		.amdhsa_user_sgpr_private_segment_buffer 1
		.amdhsa_user_sgpr_dispatch_ptr 0
		.amdhsa_user_sgpr_queue_ptr 0
		.amdhsa_user_sgpr_kernarg_segment_ptr 1
		.amdhsa_user_sgpr_dispatch_id 0
		.amdhsa_user_sgpr_flat_scratch_init 0
		.amdhsa_user_sgpr_private_segment_size 0
		.amdhsa_uses_dynamic_stack 0
		.amdhsa_system_sgpr_private_segment_wavefront_offset 0
		.amdhsa_system_sgpr_workgroup_id_x 1
		.amdhsa_system_sgpr_workgroup_id_y 0
		.amdhsa_system_sgpr_workgroup_id_z 0
		.amdhsa_system_sgpr_workgroup_info 0
		.amdhsa_system_vgpr_workitem_id 0
		.amdhsa_next_free_vgpr 23
		.amdhsa_next_free_sgpr 32
		.amdhsa_reserve_vcc 1
		.amdhsa_reserve_flat_scratch 0
		.amdhsa_float_round_mode_32 0
		.amdhsa_float_round_mode_16_64 0
		.amdhsa_float_denorm_mode_32 3
		.amdhsa_float_denorm_mode_16_64 3
		.amdhsa_dx10_clamp 1
		.amdhsa_ieee_mode 1
		.amdhsa_fp16_overflow 0
		.amdhsa_exception_fp_ieee_invalid_op 0
		.amdhsa_exception_fp_denorm_src 0
		.amdhsa_exception_fp_ieee_div_zero 0
		.amdhsa_exception_fp_ieee_overflow 0
		.amdhsa_exception_fp_ieee_underflow 0
		.amdhsa_exception_fp_ieee_inexact 0
		.amdhsa_exception_int_div_zero 0
	.end_amdhsa_kernel
	.section	.text._Z17workloadDiagonalsImEvPKT_jS2_jPj,"axG",@progbits,_Z17workloadDiagonalsImEvPKT_jS2_jPj,comdat
.Lfunc_end4:
	.size	_Z17workloadDiagonalsImEvPKT_jS2_jPj, .Lfunc_end4-_Z17workloadDiagonalsImEvPKT_jS2_jPj
                                        ; -- End function
	.set _Z17workloadDiagonalsImEvPKT_jS2_jPj.num_vgpr, 23
	.set _Z17workloadDiagonalsImEvPKT_jS2_jPj.num_agpr, 0
	.set _Z17workloadDiagonalsImEvPKT_jS2_jPj.numbered_sgpr, 32
	.set _Z17workloadDiagonalsImEvPKT_jS2_jPj.num_named_barrier, 0
	.set _Z17workloadDiagonalsImEvPKT_jS2_jPj.private_seg_size, 0
	.set _Z17workloadDiagonalsImEvPKT_jS2_jPj.uses_vcc, 1
	.set _Z17workloadDiagonalsImEvPKT_jS2_jPj.uses_flat_scratch, 0
	.set _Z17workloadDiagonalsImEvPKT_jS2_jPj.has_dyn_sized_stack, 0
	.set _Z17workloadDiagonalsImEvPKT_jS2_jPj.has_recursion, 0
	.set _Z17workloadDiagonalsImEvPKT_jS2_jPj.has_indirect_call, 0
	.section	.AMDGPU.csdata,"",@progbits
; Kernel info:
; codeLenInByte = 1692
; TotalNumSgprs: 36
; NumVgprs: 23
; ScratchSize: 0
; MemoryBound: 0
; FloatMode: 240
; IeeeMode: 1
; LDSByteSize: 148 bytes/workgroup (compile time only)
; SGPRBlocks: 4
; VGPRBlocks: 5
; NumSGPRsForWavesPerEU: 36
; NumVGPRsForWavesPerEU: 23
; Occupancy: 10
; WaveLimiterHint : 1
; COMPUTE_PGM_RSRC2:SCRATCH_EN: 0
; COMPUTE_PGM_RSRC2:USER_SGPR: 6
; COMPUTE_PGM_RSRC2:TRAP_HANDLER: 0
; COMPUTE_PGM_RSRC2:TGID_X_EN: 1
; COMPUTE_PGM_RSRC2:TGID_Y_EN: 0
; COMPUTE_PGM_RSRC2:TGID_Z_EN: 0
; COMPUTE_PGM_RSRC2:TIDIG_COMP_CNT: 0
	.section	.text._Z15mergeSinglePathImLb0ELb0EEvPKT_jS2_jPKjPS0_j,"axG",@progbits,_Z15mergeSinglePathImLb0ELb0EEvPKT_jS2_jPKjPS0_j,comdat
	.protected	_Z15mergeSinglePathImLb0ELb0EEvPKT_jS2_jPKjPS0_j ; -- Begin function _Z15mergeSinglePathImLb0ELb0EEvPKT_jS2_jPKjPS0_j
	.globl	_Z15mergeSinglePathImLb0ELb0EEvPKT_jS2_jPKjPS0_j
	.p2align	8
	.type	_Z15mergeSinglePathImLb0ELb0EEvPKT_jS2_jPKjPS0_j,@function
_Z15mergeSinglePathImLb0ELb0EEvPKT_jS2_jPKjPS0_j: ; @_Z15mergeSinglePathImLb0ELb0EEvPKT_jS2_jPKjPS0_j
; %bb.0:
	s_load_dwordx2 s[10:11], s[4:5], 0x0
	s_load_dwordx2 s[8:9], s[4:5], 0x10
	s_load_dwordx4 s[0:3], s[4:5], 0x20
	v_alignbit_b32 v1, v0, v0, 5
	v_cmp_lt_i32_e32 vcc, 1, v1
	s_and_saveexec_b64 s[12:13], vcc
	s_xor_b64 s[12:13], exec, s[12:13]
	s_cbranch_execz .LBB5_8
; %bb.1:
	v_cmp_lt_i32_e32 vcc, 2, v1
	s_and_saveexec_b64 s[14:15], vcc
	s_xor_b64 s[14:15], exec, s[14:15]
	s_cbranch_execz .LBB5_5
; %bb.2:
	v_cmp_eq_u32_e32 vcc, 3, v1
	s_and_saveexec_b64 s[16:17], vcc
	s_cbranch_execz .LBB5_4
; %bb.3:
	s_load_dword s7, s[4:5], 0x38
	s_mov_b32 s21, 0
	s_mov_b64 s[18:19], src_shared_base
	v_mov_b32_e32 v3, -1
	v_mov_b32_e32 v1, 0x202c
	s_waitcnt lgkmcnt(0)
	s_add_i32 s7, s6, s7
	s_add_i32 s20, s7, 2
	s_lshl_b64 s[20:21], s[20:21], 2
	s_add_u32 s20, s0, s20
	s_addc_u32 s21, s1, s21
	s_load_dword s7, s[20:21], 0x0
	v_mov_b32_e32 v5, 0
	v_mov_b32_e32 v2, s19
	;; [unrolled: 1-line block ×3, first 2 shown]
	s_waitcnt lgkmcnt(0)
	v_mov_b32_e32 v6, s7
	flat_store_dword v[1:2], v6
	s_waitcnt vmcnt(0)
	ds_write_b64 v5, v[3:4] offset:8216
.LBB5_4:
	s_or_b64 exec, exec, s[16:17]
.LBB5_5:
	s_andn2_saveexec_b64 s[14:15], s[14:15]
	s_cbranch_execz .LBB5_7
; %bb.6:
	s_load_dword s7, s[4:5], 0x38
	s_mov_b32 s19, 0
	s_mov_b64 s[16:17], src_shared_base
	v_mov_b32_e32 v3, -1
	v_mov_b32_e32 v1, 0x2024
	s_waitcnt lgkmcnt(0)
	s_add_i32 s7, s6, s7
	s_add_i32 s18, s7, 1
	s_lshl_b64 s[18:19], s[18:19], 2
	s_add_u32 s18, s0, s18
	s_addc_u32 s19, s1, s19
	s_load_dword s7, s[18:19], 0x0
	v_mov_b32_e32 v5, 0
	v_mov_b32_e32 v2, s17
	;; [unrolled: 1-line block ×3, first 2 shown]
	s_waitcnt lgkmcnt(0)
	v_mov_b32_e32 v6, s7
	flat_store_dword v[1:2], v6
	s_waitcnt vmcnt(0)
	ds_write_b64 v5, v[3:4] offset:4104
.LBB5_7:
	s_or_b64 exec, exec, s[14:15]
                                        ; implicit-def: $vgpr1
.LBB5_8:
	s_andn2_saveexec_b64 s[12:13], s[12:13]
	s_cbranch_execz .LBB5_16
; %bb.9:
	s_mov_b32 s17, 0
	v_cmp_lt_i32_e32 vcc, 0, v1
	s_and_saveexec_b64 s[14:15], vcc
	s_xor_b64 s[14:15], exec, s[14:15]
	s_cbranch_execz .LBB5_11
; %bb.10:
	s_add_i32 s16, s6, 1
	s_lshl_b64 s[16:17], s[16:17], 2
	s_waitcnt lgkmcnt(0)
	s_add_u32 s16, s0, s16
	s_addc_u32 s17, s1, s17
	s_load_dword s7, s[16:17], 0x0
	s_mov_b64 s[18:19], src_shared_base
	v_mov_b32_e32 v1, 0x2028
	v_mov_b32_e32 v3, 0
	v_mov_b32_e32 v2, s19
	s_waitcnt lgkmcnt(0)
	v_mov_b32_e32 v4, s7
	flat_store_dword v[1:2], v4
	s_waitcnt vmcnt(0)
	v_mov_b32_e32 v4, v3
	ds_write_b64 v3, v[3:4] offset:4112
                                        ; implicit-def: $vgpr1
.LBB5_11:
	s_andn2_saveexec_b64 s[14:15], s[14:15]
	s_cbranch_execz .LBB5_15
; %bb.12:
	s_mov_b32 s7, 0
	v_cmp_eq_u32_e32 vcc, 0, v1
	s_and_saveexec_b64 s[16:17], vcc
	s_cbranch_execz .LBB5_14
; %bb.13:
	s_lshl_b64 s[6:7], s[6:7], 2
	s_waitcnt lgkmcnt(0)
	s_add_u32 s0, s0, s6
	s_addc_u32 s1, s1, s7
	s_load_dword s0, s[0:1], 0x0
	s_mov_b64 s[18:19], src_shared_base
	v_mov_b32_e32 v1, 0x2020
	v_mov_b32_e32 v3, 0
	;; [unrolled: 1-line block ×3, first 2 shown]
	s_waitcnt lgkmcnt(0)
	v_mov_b32_e32 v4, s0
	flat_store_dword v[1:2], v4
	s_waitcnt vmcnt(0)
	v_mov_b32_e32 v4, v3
	ds_write_b64 v3, v[3:4]
.LBB5_14:
	s_or_b64 exec, exec, s[16:17]
.LBB5_15:
	s_or_b64 exec, exec, s[14:15]
.LBB5_16:
	s_or_b64 exec, exec, s[12:13]
	v_lshlrev_b32_e32 v22, 3, v0
	s_waitcnt lgkmcnt(0)
	s_movk_i32 s0, 0x7f
	v_lshlrev_b32_e32 v20, 1, v0
	v_lshlrev_b32_e32 v21, 2, v0
	v_mad_u32_u24 v23, v0, 24, v22
	v_cmp_eq_u32_e32 vcc, s0, v0
	v_mov_b32_e32 v0, s11
	v_add_co_u32_e64 v24, s[0:1], s10, v22
	v_addc_co_u32_e64 v25, s[0:1], 0, v0, s[0:1]
	s_mov_b64 s[6:7], src_shared_base
	s_add_u32 s4, s4, 56
	v_mov_b32_e32 v0, s9
	v_add_co_u32_e64 v26, s[0:1], s8, v22
	s_addc_u32 s5, s5, 0
	v_mov_b32_e32 v4, 0
	v_addc_co_u32_e64 v27, s[0:1], 0, v0, s[0:1]
	s_mov_b64 s[8:9], 0
	s_movk_i32 s6, 0x2020
	v_mov_b32_e32 v5, 0x2020
	v_mov_b32_e32 v8, s7
	;; [unrolled: 1-line block ×5, first 2 shown]
	s_movk_i32 s10, 0x2024
	v_lshlrev_b32_e32 v28, 3, v21
	v_mov_b32_e32 v7, 0x2024
	v_mov_b32_e32 v11, 0x202c
	s_barrier
	s_branch .LBB5_19
.LBB5_17:                               ;   in Loop: Header=BB5_19 Depth=1
	s_or_b64 exec, exec, s[0:1]
	s_xor_b64 s[14:15], exec, -1
	s_waitcnt vmcnt(0) lgkmcnt(0)
	s_barrier
.LBB5_18:                               ;   in Loop: Header=BB5_19 Depth=1
	s_or_b64 exec, exec, s[12:13]
	s_and_b64 s[0:1], exec, s[14:15]
	s_or_b64 s[8:9], s[0:1], s[8:9]
	s_andn2_b64 exec, exec, s[8:9]
	s_cbranch_execz .LBB5_43
.LBB5_19:                               ; =>This Loop Header: Depth=1
                                        ;     Child Loop BB5_24 Depth 2
	flat_load_dword v0, v[5:6] glc
	s_waitcnt vmcnt(0)
	flat_load_dword v1, v[9:10] glc
	s_waitcnt vmcnt(0)
	s_mov_b64 s[14:15], -1
	s_mov_b64 s[16:17], -1
	s_waitcnt lgkmcnt(0)
	v_cmp_ge_u32_e64 s[0:1], v0, v1
	s_and_saveexec_b64 s[12:13], s[0:1]
	s_cbranch_execz .LBB5_21
; %bb.20:                               ;   in Loop: Header=BB5_19 Depth=1
	v_mov_b32_e32 v12, v8
	flat_load_dword v0, v[7:8] glc
	s_waitcnt vmcnt(0)
	flat_load_dword v1, v[11:12] glc
	s_waitcnt vmcnt(0) lgkmcnt(0)
	v_cmp_lt_u32_e64 s[0:1], v0, v1
	s_orn2_b64 s[16:17], s[0:1], exec
.LBB5_21:                               ;   in Loop: Header=BB5_19 Depth=1
	s_or_b64 exec, exec, s[12:13]
	s_and_saveexec_b64 s[12:13], s[16:17]
	s_cbranch_execz .LBB5_18
; %bb.22:                               ;   in Loop: Header=BB5_19 Depth=1
	v_mov_b32_e32 v0, s6
	v_mov_b32_e32 v1, s7
	s_mov_b32 s11, s7
	flat_load_dword v3, v[0:1] glc
	s_waitcnt vmcnt(0)
	v_mov_b32_e32 v13, s11
	v_mov_b32_e32 v12, s10
	flat_load_dword v14, v[12:13] glc
	s_waitcnt vmcnt(0)
	s_load_dword s0, s[4:5], 0xc
	v_mov_b32_e32 v15, v4
	s_mov_b64 s[14:15], 0
	s_mov_b64 s[18:19], 0
                                        ; implicit-def: $sgpr16_sgpr17
	s_waitcnt lgkmcnt(0)
	s_and_b32 s0, s0, 0xffff
	s_lshl_b32 s11, s0, 3
	v_add_u32_e32 v37, s11, v22
	v_add_u32_e32 v38, s11, v37
	v_add_u32_e32 v39, s11, v38
	v_lshlrev_b64 v[2:3], 3, v[3:4]
	v_add_co_u32_e64 v2, s[0:1], v24, v2
	v_lshlrev_b64 v[14:15], 3, v[14:15]
	v_addc_co_u32_e64 v3, s[0:1], v25, v3, s[0:1]
	v_add_co_u32_e64 v14, s[0:1], v26, v14
	v_addc_co_u32_e64 v15, s[0:1], v27, v15, s[0:1]
	global_load_dwordx2 v[16:17], v[2:3], off
	v_add_co_u32_e64 v2, s[0:1], s11, v2
	v_addc_co_u32_e64 v3, s[0:1], 0, v3, s[0:1]
	global_load_dwordx2 v[18:19], v[14:15], off
	global_load_dwordx2 v[29:30], v[2:3], off
	v_add_co_u32_e64 v14, s[0:1], s11, v14
	v_addc_co_u32_e64 v15, s[0:1], 0, v15, s[0:1]
	v_add_co_u32_e64 v2, s[0:1], s11, v2
	v_addc_co_u32_e64 v3, s[0:1], 0, v3, s[0:1]
	;; [unrolled: 2-line block ×5, first 2 shown]
	global_load_dwordx2 v[14:15], v[14:15], off
	s_nop 0
	global_load_dwordx2 v[2:3], v[2:3], off
	s_nop 0
	;; [unrolled: 2-line block ×4, first 2 shown]
	global_load_dwordx2 v[35:36], v[35:36], off
	s_waitcnt vmcnt(7)
	ds_write_b64 v22, v[16:17] offset:8
	s_waitcnt vmcnt(6)
	ds_write_b64 v22, v[18:19] offset:4120
	;; [unrolled: 2-line block ×8, first 2 shown]
	flat_load_dword v3, v[0:1] glc
	s_waitcnt vmcnt(0)
	flat_load_dword v0, v[12:13] glc
	s_waitcnt vmcnt(0)
	v_mov_b32_e32 v1, v20
	v_or_b32_e32 v2, 1, v20
	s_waitcnt lgkmcnt(0)
	s_barrier
	s_branch .LBB5_24
.LBB5_23:                               ;   in Loop: Header=BB5_24 Depth=2
	s_or_b64 exec, exec, s[18:19]
	s_and_b64 s[0:1], exec, s[16:17]
	s_or_b64 s[14:15], s[0:1], s[14:15]
	s_mov_b64 s[18:19], 0
                                        ; implicit-def: $sgpr16_sgpr17
	s_andn2_b64 exec, exec, s[14:15]
	s_cbranch_execz .LBB5_29
.LBB5_24:                               ;   Parent Loop BB5_19 Depth=1
                                        ; =>  This Inner Loop Header: Depth=2
	v_mov_b32_e32 v14, v2
	v_lshlrev_b32_e32 v15, 3, v14
	v_not_b32_e32 v2, v14
	v_lshl_add_u32 v16, v2, 3, v23
	ds_read_b64 v[12:13], v15
	ds_read_b64 v[17:18], v16 offset:4128
	v_add_u32_e32 v1, 1, v1
	v_lshrrev_b32_e32 v1, 1, v1
	s_or_b64 s[16:17], s[16:17], exec
                                        ; implicit-def: $vgpr2
	s_waitcnt lgkmcnt(0)
	v_cmp_le_u64_e64 s[0:1], v[12:13], v[17:18]
	s_and_saveexec_b64 s[20:21], s[0:1]
; %bb.25:                               ;   in Loop: Header=BB5_24 Depth=2
	v_add_u32_e32 v2, v1, v14
	s_andn2_b64 s[16:17], s[16:17], exec
; %bb.26:                               ;   in Loop: Header=BB5_24 Depth=2
	s_or_b64 exec, exec, s[20:21]
	s_and_b64 s[0:1], exec, s[16:17]
	s_or_b64 s[18:19], s[0:1], s[18:19]
	s_andn2_b64 exec, exec, s[18:19]
	s_cbranch_execnz .LBB5_24
; %bb.27:                               ;   in Loop: Header=BB5_24 Depth=2
	s_or_b64 exec, exec, s[18:19]
	v_add_u32_e32 v2, -8, v15
	ds_read_b64 v[17:18], v2
	ds_read_b64 v[29:30], v16 offset:4136
	s_mov_b64 s[16:17], -1
                                        ; implicit-def: $vgpr2
	s_waitcnt lgkmcnt(0)
	v_cmp_gt_u64_e64 s[0:1], v[17:18], v[29:30]
	s_and_saveexec_b64 s[18:19], s[0:1]
	s_cbranch_execz .LBB5_23
; %bb.28:                               ;   in Loop: Header=BB5_24 Depth=2
	v_sub_u32_e32 v2, v14, v1
	s_xor_b64 s[16:17], exec, -1
	s_branch .LBB5_23
.LBB5_29:                               ;   in Loop: Header=BB5_19 Depth=1
	s_or_b64 exec, exec, s[14:15]
	v_sub_u32_e32 v1, v21, v14
	v_lshlrev_b32_e32 v30, 3, v1
	ds_read_b64 v[1:2], v30 offset:4128
                                        ; implicit-def: $vgpr16_vgpr17
                                        ; implicit-def: $vgpr31
	s_waitcnt lgkmcnt(0)
	v_cmp_le_u64_e64 s[0:1], v[12:13], v[1:2]
	s_and_saveexec_b64 s[14:15], s[0:1]
	s_xor_b64 s[0:1], exec, s[14:15]
; %bb.30:                               ;   in Loop: Header=BB5_19 Depth=1
	ds_read_b64 v[16:17], v15 offset:8
	v_add_u32_e32 v31, 1, v14
                                        ; implicit-def: $vgpr30
; %bb.31:                               ;   in Loop: Header=BB5_19 Depth=1
	s_or_saveexec_b64 s[0:1], s[0:1]
	v_or_b32_e32 v15, 2, v21
	v_mov_b32_e32 v19, v2
	v_sub_u32_e32 v29, v15, v14
	v_mov_b32_e32 v18, v1
	s_xor_b64 exec, exec, s[0:1]
	s_cbranch_execz .LBB5_33
; %bb.32:                               ;   in Loop: Header=BB5_19 Depth=1
	ds_read_b64 v[18:19], v30 offset:4136
	s_waitcnt lgkmcnt(1)
	v_mov_b32_e32 v17, v13
	v_mov_b32_e32 v16, v12
	;; [unrolled: 1-line block ×3, first 2 shown]
	v_add_u32_e32 v29, 1, v29
	v_mov_b32_e32 v31, v14
	v_mov_b32_e32 v12, v1
.LBB5_33:                               ;   in Loop: Header=BB5_19 Depth=1
	s_or_b64 exec, exec, s[0:1]
	v_lshlrev_b64 v[2:3], 3, v[3:4]
	v_mov_b32_e32 v1, v4
	v_mov_b32_e32 v14, s3
	v_add_co_u32_e64 v2, s[0:1], s2, v2
	v_lshlrev_b64 v[0:1], 3, v[0:1]
	v_addc_co_u32_e64 v3, s[0:1], v14, v3, s[0:1]
	v_add_co_u32_e64 v0, s[0:1], v2, v0
	v_addc_co_u32_e64 v1, s[0:1], v3, v1, s[0:1]
	v_add_co_u32_e64 v14, s[0:1], v0, v28
	v_addc_co_u32_e64 v15, s[0:1], 0, v1, s[0:1]
	s_waitcnt lgkmcnt(0)
	v_cmp_le_u64_e64 s[0:1], v[16:17], v[18:19]
	global_store_dwordx2 v[14:15], v[12:13], off
                                        ; implicit-def: $vgpr0_vgpr1
                                        ; implicit-def: $vgpr30
	s_and_saveexec_b64 s[14:15], s[0:1]
	s_xor_b64 s[0:1], exec, s[14:15]
; %bb.34:                               ;   in Loop: Header=BB5_19 Depth=1
	v_lshlrev_b32_e32 v0, 3, v31
	ds_read_b64 v[0:1], v0 offset:8
	v_add_u32_e32 v30, 1, v31
                                        ; implicit-def: $vgpr31
; %bb.35:                               ;   in Loop: Header=BB5_19 Depth=1
	s_or_saveexec_b64 s[0:1], s[0:1]
	v_mov_b32_e32 v2, v18
	v_mov_b32_e32 v3, v19
	s_xor_b64 exec, exec, s[0:1]
	s_cbranch_execz .LBB5_37
; %bb.36:                               ;   in Loop: Header=BB5_19 Depth=1
	s_waitcnt lgkmcnt(0)
	v_lshlrev_b32_e32 v1, 3, v29
	ds_read_b64 v[2:3], v1 offset:4120
	v_add_u32_e32 v0, 1, v29
	v_mov_b32_e32 v29, v0
	v_mov_b32_e32 v0, v16
	;; [unrolled: 1-line block ×6, first 2 shown]
.LBB5_37:                               ;   in Loop: Header=BB5_19 Depth=1
	s_or_b64 exec, exec, s[0:1]
	s_waitcnt lgkmcnt(0)
	v_cmp_le_u64_e64 s[0:1], v[0:1], v[2:3]
	global_store_dwordx2 v[14:15], v[16:17], off offset:8
                                        ; implicit-def: $vgpr12_vgpr13
	s_and_saveexec_b64 s[14:15], s[0:1]
	s_xor_b64 s[0:1], exec, s[14:15]
; %bb.38:                               ;   in Loop: Header=BB5_19 Depth=1
	v_lshlrev_b32_e32 v12, 3, v30
	ds_read_b64 v[12:13], v12 offset:8
	v_add_u32_e32 v29, -1, v29
; %bb.39:                               ;   in Loop: Header=BB5_19 Depth=1
	s_or_saveexec_b64 s[0:1], s[0:1]
	v_mov_b32_e32 v17, v3
	v_mov_b32_e32 v16, v2
	s_xor_b64 exec, exec, s[0:1]
	s_cbranch_execz .LBB5_41
; %bb.40:                               ;   in Loop: Header=BB5_19 Depth=1
	s_waitcnt lgkmcnt(0)
	v_lshlrev_b32_e32 v12, 3, v29
	ds_read_b64 v[16:17], v12 offset:4120
	v_mov_b32_e32 v13, v1
	v_mov_b32_e32 v12, v0
	;; [unrolled: 1-line block ×3, first 2 shown]
	v_add_u32_e32 v30, -1, v30
	v_mov_b32_e32 v1, v3
.LBB5_41:                               ;   in Loop: Header=BB5_19 Depth=1
	s_or_b64 exec, exec, s[0:1]
	s_waitcnt lgkmcnt(0)
	v_cmp_lt_u64_e64 s[0:1], v[12:13], v[16:17]
	v_cndmask_b32_e64 v3, v17, v13, s[0:1]
	v_cndmask_b32_e64 v2, v16, v12, s[0:1]
	global_store_dwordx4 v[14:15], v[0:3], off offset:16
	s_and_saveexec_b64 s[0:1], vcc
	s_cbranch_execz .LBB5_17
; %bb.42:                               ;   in Loop: Header=BB5_19 Depth=1
	v_mov_b32_e32 v0, s6
	v_mov_b32_e32 v1, s7
	flat_load_dword v2, v[0:1] glc
	s_waitcnt vmcnt(0)
	s_mov_b32 s11, s7
	s_waitcnt lgkmcnt(0)
	v_add_u32_e32 v2, v2, v30
	flat_store_dword v[0:1], v2
	s_waitcnt vmcnt(0)
	v_mov_b32_e32 v0, s10
	v_mov_b32_e32 v1, s11
	flat_load_dword v2, v[0:1] glc
	s_waitcnt vmcnt(0) lgkmcnt(0)
	v_add_u32_e32 v2, v2, v29
	flat_store_dword v[0:1], v2
	s_waitcnt vmcnt(0)
	s_branch .LBB5_17
.LBB5_43:
	s_endpgm
	.section	.rodata,"a",@progbits
	.p2align	6, 0x0
	.amdhsa_kernel _Z15mergeSinglePathImLb0ELb0EEvPKT_jS2_jPKjPS0_j
		.amdhsa_group_segment_fixed_size 8240
		.amdhsa_private_segment_fixed_size 0
		.amdhsa_kernarg_size 312
		.amdhsa_user_sgpr_count 6
		.amdhsa_user_sgpr_private_segment_buffer 1
		.amdhsa_user_sgpr_dispatch_ptr 0
		.amdhsa_user_sgpr_queue_ptr 0
		.amdhsa_user_sgpr_kernarg_segment_ptr 1
		.amdhsa_user_sgpr_dispatch_id 0
		.amdhsa_user_sgpr_flat_scratch_init 0
		.amdhsa_user_sgpr_private_segment_size 0
		.amdhsa_uses_dynamic_stack 0
		.amdhsa_system_sgpr_private_segment_wavefront_offset 0
		.amdhsa_system_sgpr_workgroup_id_x 1
		.amdhsa_system_sgpr_workgroup_id_y 0
		.amdhsa_system_sgpr_workgroup_id_z 0
		.amdhsa_system_sgpr_workgroup_info 0
		.amdhsa_system_vgpr_workitem_id 0
		.amdhsa_next_free_vgpr 40
		.amdhsa_next_free_sgpr 61
		.amdhsa_reserve_vcc 1
		.amdhsa_reserve_flat_scratch 0
		.amdhsa_float_round_mode_32 0
		.amdhsa_float_round_mode_16_64 0
		.amdhsa_float_denorm_mode_32 3
		.amdhsa_float_denorm_mode_16_64 3
		.amdhsa_dx10_clamp 1
		.amdhsa_ieee_mode 1
		.amdhsa_fp16_overflow 0
		.amdhsa_exception_fp_ieee_invalid_op 0
		.amdhsa_exception_fp_denorm_src 0
		.amdhsa_exception_fp_ieee_div_zero 0
		.amdhsa_exception_fp_ieee_overflow 0
		.amdhsa_exception_fp_ieee_underflow 0
		.amdhsa_exception_fp_ieee_inexact 0
		.amdhsa_exception_int_div_zero 0
	.end_amdhsa_kernel
	.section	.text._Z15mergeSinglePathImLb0ELb0EEvPKT_jS2_jPKjPS0_j,"axG",@progbits,_Z15mergeSinglePathImLb0ELb0EEvPKT_jS2_jPKjPS0_j,comdat
.Lfunc_end5:
	.size	_Z15mergeSinglePathImLb0ELb0EEvPKT_jS2_jPKjPS0_j, .Lfunc_end5-_Z15mergeSinglePathImLb0ELb0EEvPKT_jS2_jPKjPS0_j
                                        ; -- End function
	.set _Z15mergeSinglePathImLb0ELb0EEvPKT_jS2_jPKjPS0_j.num_vgpr, 40
	.set _Z15mergeSinglePathImLb0ELb0EEvPKT_jS2_jPKjPS0_j.num_agpr, 0
	.set _Z15mergeSinglePathImLb0ELb0EEvPKT_jS2_jPKjPS0_j.numbered_sgpr, 22
	.set _Z15mergeSinglePathImLb0ELb0EEvPKT_jS2_jPKjPS0_j.num_named_barrier, 0
	.set _Z15mergeSinglePathImLb0ELb0EEvPKT_jS2_jPKjPS0_j.private_seg_size, 0
	.set _Z15mergeSinglePathImLb0ELb0EEvPKT_jS2_jPKjPS0_j.uses_vcc, 1
	.set _Z15mergeSinglePathImLb0ELb0EEvPKT_jS2_jPKjPS0_j.uses_flat_scratch, 0
	.set _Z15mergeSinglePathImLb0ELb0EEvPKT_jS2_jPKjPS0_j.has_dyn_sized_stack, 0
	.set _Z15mergeSinglePathImLb0ELb0EEvPKT_jS2_jPKjPS0_j.has_recursion, 0
	.set _Z15mergeSinglePathImLb0ELb0EEvPKT_jS2_jPKjPS0_j.has_indirect_call, 0
	.section	.AMDGPU.csdata,"",@progbits
; Kernel info:
; codeLenInByte = 1980
; TotalNumSgprs: 26
; NumVgprs: 40
; ScratchSize: 0
; MemoryBound: 0
; FloatMode: 240
; IeeeMode: 1
; LDSByteSize: 8240 bytes/workgroup (compile time only)
; SGPRBlocks: 8
; VGPRBlocks: 9
; NumSGPRsForWavesPerEU: 65
; NumVGPRsForWavesPerEU: 40
; Occupancy: 6
; WaveLimiterHint : 1
; COMPUTE_PGM_RSRC2:SCRATCH_EN: 0
; COMPUTE_PGM_RSRC2:USER_SGPR: 6
; COMPUTE_PGM_RSRC2:TRAP_HANDLER: 0
; COMPUTE_PGM_RSRC2:TGID_X_EN: 1
; COMPUTE_PGM_RSRC2:TGID_Y_EN: 0
; COMPUTE_PGM_RSRC2:TGID_Z_EN: 0
; COMPUTE_PGM_RSRC2:TIDIG_COMP_CNT: 0
	.section	.text._Z17workloadDiagonalsIdEvPKT_jS2_jPj,"axG",@progbits,_Z17workloadDiagonalsIdEvPKT_jS2_jPj,comdat
	.protected	_Z17workloadDiagonalsIdEvPKT_jS2_jPj ; -- Begin function _Z17workloadDiagonalsIdEvPKT_jS2_jPj
	.globl	_Z17workloadDiagonalsIdEvPKT_jS2_jPj
	.p2align	8
	.type	_Z17workloadDiagonalsIdEvPKT_jS2_jPj,@function
_Z17workloadDiagonalsIdEvPKT_jS2_jPj:   ; @_Z17workloadDiagonalsIdEvPKT_jS2_jPj
; %bb.0:
	s_load_dwordx2 s[12:13], s[4:5], 0x0
	s_load_dword s31, s[4:5], 0x8
	s_load_dwordx2 s[14:15], s[4:5], 0x10
	s_load_dword s30, s[4:5], 0x18
	s_load_dwordx2 s[10:11], s[4:5], 0x20
	s_mov_b32 s8, 0
	v_cmp_ne_u32_e64 s[0:1], 0, v0
	v_cmp_eq_u32_e32 vcc, 0, v0
	s_and_saveexec_b64 s[2:3], vcc
	s_cbranch_execz .LBB6_5
; %bb.1:
	s_waitcnt lgkmcnt(0)
	s_add_u32 s18, s30, s31
	s_addc_u32 s7, 0, 0
	s_mul_i32 s9, s7, s6
	s_load_dword s7, s[4:5], 0x28
	s_mul_hi_u32 s16, s18, s6
	s_add_i32 s9, s16, s9
	s_cmp_lg_u64 s[8:9], 0
	s_mul_i32 s18, s18, s6
	s_cbranch_scc0 .LBB6_21
; %bb.2:
	s_waitcnt lgkmcnt(0)
	v_cvt_f32_u32_e32 v1, s7
	v_mov_b32_e32 v2, 0x4f800000
	s_sub_u32 s8, 0, s7
	s_subb_u32 s19, 0, 0
	v_mac_f32_e32 v1, 0, v2
	v_rcp_f32_e32 v1, v1
	v_mul_f32_e32 v1, 0x5f7ffffc, v1
	v_mul_f32_e32 v2, 0x2f800000, v1
	v_trunc_f32_e32 v2, v2
	v_madmk_f32 v1, v2, 0xcf800000, v1
	v_cvt_u32_f32_e32 v2, v2
	v_cvt_u32_f32_e32 v1, v1
	v_readfirstlane_b32 s22, v2
	v_readfirstlane_b32 s20, v1
	s_mul_i32 s21, s8, s22
	s_mul_hi_u32 s24, s8, s20
	s_mul_i32 s23, s19, s20
	s_add_i32 s21, s24, s21
	s_add_i32 s21, s21, s23
	s_mul_i32 s25, s8, s20
	s_mul_i32 s24, s20, s21
	s_mul_hi_u32 s26, s20, s25
	s_mul_hi_u32 s23, s20, s21
	s_add_u32 s24, s26, s24
	s_addc_u32 s23, 0, s23
	s_mul_hi_u32 s27, s22, s25
	s_mul_i32 s25, s22, s25
	s_add_u32 s24, s24, s25
	s_mul_hi_u32 s26, s22, s21
	s_addc_u32 s23, s23, s27
	s_addc_u32 s24, s26, 0
	s_mul_i32 s21, s22, s21
	s_add_u32 s21, s23, s21
	s_addc_u32 s23, 0, s24
	s_add_u32 s24, s20, s21
	s_cselect_b64 s[20:21], -1, 0
	s_cmp_lg_u64 s[20:21], 0
	s_addc_u32 s22, s22, s23
	s_mul_i32 s20, s8, s22
	s_mul_hi_u32 s21, s8, s24
	s_add_i32 s20, s21, s20
	s_mul_i32 s19, s19, s24
	s_add_i32 s20, s20, s19
	s_mul_i32 s8, s8, s24
	s_mul_hi_u32 s21, s22, s8
	s_mul_i32 s23, s22, s8
	s_mul_i32 s26, s24, s20
	s_mul_hi_u32 s8, s24, s8
	s_mul_hi_u32 s25, s24, s20
	s_add_u32 s8, s8, s26
	s_addc_u32 s25, 0, s25
	s_add_u32 s8, s8, s23
	s_mul_hi_u32 s19, s22, s20
	s_addc_u32 s8, s25, s21
	s_addc_u32 s19, s19, 0
	s_mul_i32 s20, s22, s20
	s_add_u32 s8, s8, s20
	s_addc_u32 s19, 0, s19
	s_add_u32 s8, s24, s8
	s_cselect_b64 s[20:21], -1, 0
	s_cmp_lg_u64 s[20:21], 0
	s_addc_u32 s19, s22, s19
	s_mul_i32 s21, s18, s19
	s_mul_hi_u32 s22, s18, s8
	s_mul_hi_u32 s20, s18, s19
	s_add_u32 s21, s22, s21
	s_addc_u32 s20, 0, s20
	s_mul_hi_u32 s23, s9, s8
	s_mul_i32 s8, s9, s8
	s_add_u32 s8, s21, s8
	s_mul_hi_u32 s22, s9, s19
	s_addc_u32 s8, s20, s23
	s_addc_u32 s20, s22, 0
	s_mul_i32 s19, s9, s19
	s_add_u32 s19, s8, s19
	s_addc_u32 s8, 0, s20
	s_mul_i32 s8, s7, s8
	s_mul_hi_u32 s20, s7, s19
	s_add_u32 s22, s19, 1
	s_add_u32 s23, s19, 2
	s_add_i32 s8, s20, s8
	s_mul_i32 s20, s7, s19
	s_sub_u32 s24, s18, s20
	s_cselect_b64 s[20:21], -1, 0
	s_cmp_lg_u64 s[20:21], 0
	s_subb_u32 s20, s9, s8
	s_sub_u32 s21, s24, s7
	s_cselect_b64 s[8:9], -1, 0
	s_cmp_lg_u64 s[8:9], 0
	s_subb_u32 s8, s20, 0
	s_cmp_ge_u32 s21, s7
	s_cselect_b32 s9, -1, 0
	s_cmp_eq_u32 s8, 0
	s_cselect_b32 s8, s9, -1
	s_cmp_lg_u32 s8, 0
	s_cselect_b32 s8, s23, s22
	s_cmp_ge_u32 s24, s7
	s_cselect_b32 s9, -1, 0
	s_cmp_eq_u32 s20, 0
	s_cselect_b32 s9, s9, -1
	s_cmp_lg_u32 s9, 0
	s_cselect_b32 s8, s8, s19
	s_cbranch_execnz .LBB6_4
.LBB6_3:
	s_waitcnt lgkmcnt(0)
	v_cvt_f32_u32_e32 v1, s7
	s_sub_i32 s8, 0, s7
	v_rcp_iflag_f32_e32 v1, v1
	v_mul_f32_e32 v1, 0x4f7ffffe, v1
	v_cvt_u32_f32_e32 v1, v1
	v_readfirstlane_b32 s9, v1
	s_mul_i32 s8, s8, s9
	s_mul_hi_u32 s8, s9, s8
	s_add_i32 s9, s9, s8
	s_mul_hi_u32 s8, s18, s9
	s_mul_i32 s16, s8, s7
	s_sub_i32 s16, s18, s16
	s_add_i32 s9, s8, 1
	s_sub_i32 s17, s16, s7
	s_cmp_ge_u32 s16, s7
	s_cselect_b32 s8, s9, s8
	s_cselect_b32 s16, s17, s16
	s_add_i32 s9, s8, 1
	s_cmp_ge_u32 s16, s7
	s_cselect_b32 s8, s9, s8
.LBB6_4:
	s_mov_b64 s[16:17], src_shared_base
	s_movk_i32 s16, 0x84
	s_waitcnt lgkmcnt(0)
	s_min_u32 s7, s31, s8
	v_mov_b32_e32 v1, s16
	v_mov_b32_e32 v2, s17
	v_mov_b32_e32 v3, s7
	flat_store_dword v[1:2], v3
	s_waitcnt vmcnt(0)
	v_mov_b32_e32 v3, s31
	s_movk_i32 s16, 0x88
	v_sub_u32_e64 v5, s8, v3 clamp
	v_mov_b32_e32 v3, s16
	v_mov_b32_e32 v4, s17
	flat_store_dword v[3:4], v5
	s_waitcnt vmcnt(0)
	flat_load_dword v5, v[3:4] glc
	s_waitcnt vmcnt(0)
	v_mov_b32_e32 v3, 0x8c
	v_mov_b32_e32 v4, s17
	s_waitcnt lgkmcnt(0)
	flat_store_dword v[3:4], v5
	s_waitcnt vmcnt(0)
	flat_load_dword v1, v[1:2] glc
	s_waitcnt vmcnt(0)
	v_mov_b32_e32 v3, 0x90
	s_waitcnt lgkmcnt(0)
	flat_store_dword v[3:4], v1
	s_waitcnt vmcnt(0)
	v_mov_b32_e32 v3, 0x80
	v_mov_b32_e32 v1, 0
	flat_store_dword v[3:4], v1
	s_waitcnt vmcnt(0)
.LBB6_5:
	s_or_b64 exec, exec, s[2:3]
	s_mov_b64 s[2:3], src_shared_base
	v_mov_b32_e32 v1, 0x80
	v_mov_b32_e32 v2, s3
	s_waitcnt lgkmcnt(0)
	s_barrier
	flat_load_dword v1, v[1:2] glc
	s_waitcnt vmcnt(0) lgkmcnt(0)
	v_cmp_ne_u32_e32 vcc, 0, v1
	s_and_saveexec_b64 s[2:3], vcc
	s_xor_b64 s[2:3], exec, s[2:3]
	s_or_saveexec_b64 s[16:17], s[2:3]
	v_mov_b32_e32 v1, s6
	s_xor_b64 exec, exec, s[16:17]
	s_cbranch_execz .LBB6_18
; %bb.6:
	s_mov_b32 s21, 0
	s_mov_b64 s[18:19], src_shared_base
	s_mov_b32 s7, s21
	s_lshl_b64 s[2:3], s[6:7], 2
	s_movk_i32 s18, 0x84
	s_add_u32 s22, s10, s2
	v_mov_b32_e32 v1, s18
	s_addc_u32 s23, s11, s3
	v_mov_b32_e32 v2, s19
	s_movk_i32 s18, 0x88
	s_add_u32 s24, s4, 40
	v_mov_b32_e32 v5, s18
	v_lshlrev_b32_e32 v15, 2, v0
	s_addc_u32 s25, s5, 0
	s_add_i32 s7, s6, 1
	v_cmp_eq_u32_e32 vcc, 16, v0
	s_mov_b64 s[26:27], 0
	v_mov_b32_e32 v3, 0x8c
	v_mov_b32_e32 v4, s19
	;; [unrolled: 1-line block ×11, first 2 shown]
	s_branch .LBB6_8
.LBB6_7:                                ;   in Loop: Header=BB6_8 Depth=1
	s_or_b64 exec, exec, s[8:9]
	s_waitcnt lgkmcnt(0)
	s_barrier
	flat_load_dword v9, v[11:12] glc
	s_waitcnt vmcnt(0) lgkmcnt(0)
	v_cmp_ne_u32_e64 s[2:3], 0, v9
	s_or_b64 s[26:27], s[2:3], s[26:27]
	s_andn2_b64 exec, exec, s[26:27]
	s_cbranch_execz .LBB6_17
.LBB6_8:                                ; =>This Inner Loop Header: Depth=1
	flat_load_dword v9, v[1:2] glc
	s_waitcnt vmcnt(0)
	flat_load_dword v13, v[1:2] glc
	s_waitcnt vmcnt(0)
	flat_load_dword v14, v[3:4] glc
	s_waitcnt vmcnt(0)
	flat_load_dword v19, v[5:6] glc
	s_waitcnt vmcnt(0)
	flat_load_dword v20, v[7:8] glc
	s_waitcnt vmcnt(0)
	flat_load_dword v21, v[5:6] glc
	s_waitcnt vmcnt(0)
	v_add_u32_e32 v22, -16, v0
	s_waitcnt lgkmcnt(0)
	v_sub_u32_e32 v13, v13, v14
	v_ashrrev_i32_e32 v13, 1, v13
	v_sub_u32_e32 v14, v20, v21
	v_add_u32_e32 v20, v0, v13
	v_ashrrev_i32_e32 v14, 1, v14
	v_sub_u32_e32 v9, v9, v20
	v_add3_u32 v13, v19, v22, v14
	v_add_u32_e32 v9, 16, v9
	v_cmp_lt_i32_e64 s[2:3], -1, v13
	v_cmp_gt_i32_e64 s[8:9], s31, v9
	s_and_b64 s[2:3], s[8:9], s[2:3]
	v_mov_b32_e32 v14, 0
	s_and_saveexec_b64 s[28:29], s[2:3]
	s_cbranch_execz .LBB6_12
; %bb.9:                                ;   in Loop: Header=BB6_8 Depth=1
	v_cmp_gt_i32_e64 s[2:3], s30, v13
	v_cmp_lt_i32_e64 s[8:9], 0, v9
	s_and_b64 s[2:3], s[8:9], s[2:3]
	v_mov_b32_e32 v14, 1
	s_and_saveexec_b64 s[8:9], s[2:3]
	s_cbranch_execz .LBB6_11
; %bb.10:                               ;   in Loop: Header=BB6_8 Depth=1
	v_lshlrev_b64 v[19:20], 3, v[9:10]
	v_mov_b32_e32 v14, s13
	v_add_co_u32_e64 v19, s[2:3], s12, v19
	v_addc_co_u32_e64 v20, s[2:3], v14, v20, s[2:3]
	v_mov_b32_e32 v14, v10
	v_lshlrev_b64 v[21:22], 3, v[13:14]
	v_mov_b32_e32 v14, s15
	v_add_co_u32_e64 v21, s[2:3], s14, v21
	v_addc_co_u32_e64 v22, s[2:3], v14, v22, s[2:3]
	global_load_dwordx2 v[19:20], v[19:20], off offset:-8
	s_nop 0
	global_load_dwordx2 v[21:22], v[21:22], off
	s_waitcnt vmcnt(0)
	v_cmp_le_f64_e64 s[2:3], v[19:20], v[21:22]
	v_cndmask_b32_e64 v14, 0, 1, s[2:3]
.LBB6_11:                               ;   in Loop: Header=BB6_8 Depth=1
	s_or_b64 exec, exec, s[8:9]
.LBB6_12:                               ;   in Loop: Header=BB6_8 Depth=1
	s_or_b64 exec, exec, s[28:29]
	ds_write_b32 v15, v14
	s_waitcnt lgkmcnt(0)
	s_barrier
	s_and_saveexec_b64 s[8:9], s[0:1]
	s_cbranch_execz .LBB6_15
; %bb.13:                               ;   in Loop: Header=BB6_8 Depth=1
	v_add_u32_e32 v14, -4, v15
	ds_read2_b32 v[19:20], v14 offset1:1
	s_waitcnt lgkmcnt(0)
	v_cmp_ne_u32_e64 s[2:3], v20, v19
	s_and_b64 exec, exec, s[2:3]
	s_cbranch_execz .LBB6_15
; %bb.14:                               ;   in Loop: Header=BB6_8 Depth=1
	flat_store_dword v[11:12], v16
	s_waitcnt vmcnt(0)
	s_load_dword s2, s[24:25], 0x0
	global_store_dword v10, v9, s[22:23]
	s_waitcnt lgkmcnt(0)
	s_add_i32 s20, s7, s2
	s_lshl_b64 s[2:3], s[20:21], 2
	s_add_u32 s2, s10, s2
	s_addc_u32 s3, s11, s3
	global_store_dword v10, v13, s[2:3]
.LBB6_15:                               ;   in Loop: Header=BB6_8 Depth=1
	s_or_b64 exec, exec, s[8:9]
	s_waitcnt vmcnt(0)
	s_barrier
	s_and_saveexec_b64 s[8:9], vcc
	s_cbranch_execz .LBB6_7
; %bb.16:                               ;   in Loop: Header=BB6_8 Depth=1
	ds_read_b32 v14, v10 offset:124
	v_mov_b32_e32 v20, s19
	v_mov_b32_e32 v22, s19
	s_waitcnt lgkmcnt(0)
	v_cmp_eq_u32_e64 s[2:3], 0, v14
	v_cndmask_b32_e64 v19, v3, v17, s[2:3]
	v_cndmask_b32_e64 v21, v7, v18, s[2:3]
	flat_store_dword v[19:20], v9
	s_waitcnt vmcnt(0)
	flat_store_dword v[21:22], v13
	s_waitcnt vmcnt(0)
	s_branch .LBB6_7
.LBB6_17:
	s_or_b64 exec, exec, s[26:27]
	v_mov_b32_e32 v1, s6
.LBB6_18:
	s_or_b64 exec, exec, s[16:17]
	v_or_b32_e32 v0, v0, v1
	s_mov_b32 s1, 0
	v_cmp_eq_u32_e32 vcc, 0, v0
	s_and_saveexec_b64 s[2:3], vcc
	s_cbranch_execz .LBB6_20
; %bb.19:
	s_load_dword s0, s[4:5], 0x28
	s_mov_b32 s3, s1
	v_mov_b32_e32 v0, 0
	global_store_dword v0, v0, s[10:11]
	v_mov_b32_e32 v1, s31
	s_waitcnt lgkmcnt(0)
	s_add_i32 s2, s0, 1
	s_lshl_b64 s[2:3], s[2:3], 2
	s_add_u32 s2, s10, s2
	s_addc_u32 s3, s11, s3
	s_lshl_b64 s[4:5], s[0:1], 2
	global_store_dword v0, v0, s[2:3]
	s_add_u32 s2, s10, s4
	s_addc_u32 s3, s11, s5
	s_lshl_b32 s0, s0, 1
	s_lshl_b64 s[0:1], s[0:1], 2
	s_add_u32 s0, s10, s0
	global_store_dword v0, v1, s[2:3]
	s_addc_u32 s1, s11, s1
	v_mov_b32_e32 v1, s30
	global_store_dword v0, v1, s[0:1] offset:4
.LBB6_20:
	s_endpgm
.LBB6_21:
                                        ; implicit-def: $sgpr8_sgpr9
	s_branch .LBB6_3
	.section	.rodata,"a",@progbits
	.p2align	6, 0x0
	.amdhsa_kernel _Z17workloadDiagonalsIdEvPKT_jS2_jPj
		.amdhsa_group_segment_fixed_size 148
		.amdhsa_private_segment_fixed_size 0
		.amdhsa_kernarg_size 296
		.amdhsa_user_sgpr_count 6
		.amdhsa_user_sgpr_private_segment_buffer 1
		.amdhsa_user_sgpr_dispatch_ptr 0
		.amdhsa_user_sgpr_queue_ptr 0
		.amdhsa_user_sgpr_kernarg_segment_ptr 1
		.amdhsa_user_sgpr_dispatch_id 0
		.amdhsa_user_sgpr_flat_scratch_init 0
		.amdhsa_user_sgpr_private_segment_size 0
		.amdhsa_uses_dynamic_stack 0
		.amdhsa_system_sgpr_private_segment_wavefront_offset 0
		.amdhsa_system_sgpr_workgroup_id_x 1
		.amdhsa_system_sgpr_workgroup_id_y 0
		.amdhsa_system_sgpr_workgroup_id_z 0
		.amdhsa_system_sgpr_workgroup_info 0
		.amdhsa_system_vgpr_workitem_id 0
		.amdhsa_next_free_vgpr 23
		.amdhsa_next_free_sgpr 32
		.amdhsa_reserve_vcc 1
		.amdhsa_reserve_flat_scratch 0
		.amdhsa_float_round_mode_32 0
		.amdhsa_float_round_mode_16_64 0
		.amdhsa_float_denorm_mode_32 3
		.amdhsa_float_denorm_mode_16_64 3
		.amdhsa_dx10_clamp 1
		.amdhsa_ieee_mode 1
		.amdhsa_fp16_overflow 0
		.amdhsa_exception_fp_ieee_invalid_op 0
		.amdhsa_exception_fp_denorm_src 0
		.amdhsa_exception_fp_ieee_div_zero 0
		.amdhsa_exception_fp_ieee_overflow 0
		.amdhsa_exception_fp_ieee_underflow 0
		.amdhsa_exception_fp_ieee_inexact 0
		.amdhsa_exception_int_div_zero 0
	.end_amdhsa_kernel
	.section	.text._Z17workloadDiagonalsIdEvPKT_jS2_jPj,"axG",@progbits,_Z17workloadDiagonalsIdEvPKT_jS2_jPj,comdat
.Lfunc_end6:
	.size	_Z17workloadDiagonalsIdEvPKT_jS2_jPj, .Lfunc_end6-_Z17workloadDiagonalsIdEvPKT_jS2_jPj
                                        ; -- End function
	.set _Z17workloadDiagonalsIdEvPKT_jS2_jPj.num_vgpr, 23
	.set _Z17workloadDiagonalsIdEvPKT_jS2_jPj.num_agpr, 0
	.set _Z17workloadDiagonalsIdEvPKT_jS2_jPj.numbered_sgpr, 32
	.set _Z17workloadDiagonalsIdEvPKT_jS2_jPj.num_named_barrier, 0
	.set _Z17workloadDiagonalsIdEvPKT_jS2_jPj.private_seg_size, 0
	.set _Z17workloadDiagonalsIdEvPKT_jS2_jPj.uses_vcc, 1
	.set _Z17workloadDiagonalsIdEvPKT_jS2_jPj.uses_flat_scratch, 0
	.set _Z17workloadDiagonalsIdEvPKT_jS2_jPj.has_dyn_sized_stack, 0
	.set _Z17workloadDiagonalsIdEvPKT_jS2_jPj.has_recursion, 0
	.set _Z17workloadDiagonalsIdEvPKT_jS2_jPj.has_indirect_call, 0
	.section	.AMDGPU.csdata,"",@progbits
; Kernel info:
; codeLenInByte = 1692
; TotalNumSgprs: 36
; NumVgprs: 23
; ScratchSize: 0
; MemoryBound: 0
; FloatMode: 240
; IeeeMode: 1
; LDSByteSize: 148 bytes/workgroup (compile time only)
; SGPRBlocks: 4
; VGPRBlocks: 5
; NumSGPRsForWavesPerEU: 36
; NumVGPRsForWavesPerEU: 23
; Occupancy: 10
; WaveLimiterHint : 1
; COMPUTE_PGM_RSRC2:SCRATCH_EN: 0
; COMPUTE_PGM_RSRC2:USER_SGPR: 6
; COMPUTE_PGM_RSRC2:TRAP_HANDLER: 0
; COMPUTE_PGM_RSRC2:TGID_X_EN: 1
; COMPUTE_PGM_RSRC2:TGID_Y_EN: 0
; COMPUTE_PGM_RSRC2:TGID_Z_EN: 0
; COMPUTE_PGM_RSRC2:TIDIG_COMP_CNT: 0
	.section	.text._Z15mergeSinglePathIdLb0ELb0EEvPKT_jS2_jPKjPS0_j,"axG",@progbits,_Z15mergeSinglePathIdLb0ELb0EEvPKT_jS2_jPKjPS0_j,comdat
	.protected	_Z15mergeSinglePathIdLb0ELb0EEvPKT_jS2_jPKjPS0_j ; -- Begin function _Z15mergeSinglePathIdLb0ELb0EEvPKT_jS2_jPKjPS0_j
	.globl	_Z15mergeSinglePathIdLb0ELb0EEvPKT_jS2_jPKjPS0_j
	.p2align	8
	.type	_Z15mergeSinglePathIdLb0ELb0EEvPKT_jS2_jPKjPS0_j,@function
_Z15mergeSinglePathIdLb0ELb0EEvPKT_jS2_jPKjPS0_j: ; @_Z15mergeSinglePathIdLb0ELb0EEvPKT_jS2_jPKjPS0_j
; %bb.0:
	s_load_dwordx2 s[0:1], s[4:5], 0x0
	s_load_dwordx2 s[2:3], s[4:5], 0x10
	s_load_dwordx4 s[8:11], s[4:5], 0x20
	v_alignbit_b32 v1, v0, v0, 5
	v_cmp_lt_i32_e32 vcc, 1, v1
	s_and_saveexec_b64 s[12:13], vcc
	s_xor_b64 s[12:13], exec, s[12:13]
	s_cbranch_execz .LBB7_8
; %bb.1:
	v_cmp_lt_i32_e32 vcc, 2, v1
	s_and_saveexec_b64 s[14:15], vcc
	s_xor_b64 s[14:15], exec, s[14:15]
	s_cbranch_execz .LBB7_5
; %bb.2:
	v_cmp_eq_u32_e32 vcc, 3, v1
	s_and_saveexec_b64 s[16:17], vcc
	s_cbranch_execz .LBB7_4
; %bb.3:
	s_load_dword s7, s[4:5], 0x38
	s_mov_b32 s21, 0
	s_mov_b64 s[18:19], src_shared_base
	v_mov_b32_e32 v1, 0x202c
	v_mov_b32_e32 v3, -1
	s_waitcnt lgkmcnt(0)
	s_add_i32 s7, s6, s7
	s_add_i32 s20, s7, 2
	s_lshl_b64 s[20:21], s[20:21], 2
	s_add_u32 s20, s8, s20
	s_addc_u32 s21, s9, s21
	s_load_dword s7, s[20:21], 0x0
	v_mov_b32_e32 v4, 0x7fefffff
	v_mov_b32_e32 v5, 0
	;; [unrolled: 1-line block ×3, first 2 shown]
	s_waitcnt lgkmcnt(0)
	v_mov_b32_e32 v6, s7
	flat_store_dword v[1:2], v6
	s_waitcnt vmcnt(0)
	ds_write_b64 v5, v[3:4] offset:8216
.LBB7_4:
	s_or_b64 exec, exec, s[16:17]
.LBB7_5:
	s_andn2_saveexec_b64 s[14:15], s[14:15]
	s_cbranch_execz .LBB7_7
; %bb.6:
	s_load_dword s7, s[4:5], 0x38
	s_mov_b32 s19, 0
	s_mov_b64 s[16:17], src_shared_base
	v_mov_b32_e32 v1, 0x2024
	v_mov_b32_e32 v3, -1
	s_waitcnt lgkmcnt(0)
	s_add_i32 s7, s6, s7
	s_add_i32 s18, s7, 1
	s_lshl_b64 s[18:19], s[18:19], 2
	s_add_u32 s18, s8, s18
	s_addc_u32 s19, s9, s19
	s_load_dword s7, s[18:19], 0x0
	v_mov_b32_e32 v4, 0x7fefffff
	v_mov_b32_e32 v5, 0
	;; [unrolled: 1-line block ×3, first 2 shown]
	s_waitcnt lgkmcnt(0)
	v_mov_b32_e32 v6, s7
	flat_store_dword v[1:2], v6
	s_waitcnt vmcnt(0)
	ds_write_b64 v5, v[3:4] offset:4104
.LBB7_7:
	s_or_b64 exec, exec, s[14:15]
                                        ; implicit-def: $vgpr1
.LBB7_8:
	s_andn2_saveexec_b64 s[12:13], s[12:13]
	s_cbranch_execz .LBB7_16
; %bb.9:
	s_mov_b32 s17, 0
	v_cmp_lt_i32_e32 vcc, 0, v1
	s_and_saveexec_b64 s[14:15], vcc
	s_xor_b64 s[14:15], exec, s[14:15]
	s_cbranch_execz .LBB7_11
; %bb.10:
	s_add_i32 s16, s6, 1
	s_lshl_b64 s[16:17], s[16:17], 2
	s_waitcnt lgkmcnt(0)
	s_add_u32 s16, s8, s16
	s_addc_u32 s17, s9, s17
	s_load_dword s7, s[16:17], 0x0
	s_mov_b64 s[18:19], src_shared_base
	v_mov_b32_e32 v1, 0x2028
	v_mov_b32_e32 v2, s19
	;; [unrolled: 1-line block ×3, first 2 shown]
	s_waitcnt lgkmcnt(0)
	v_mov_b32_e32 v4, s7
	flat_store_dword v[1:2], v4
	s_waitcnt vmcnt(0)
	v_mov_b32_e32 v4, 0x100000
	ds_write_b64 v3, v[3:4] offset:4112
                                        ; implicit-def: $vgpr1
.LBB7_11:
	s_andn2_saveexec_b64 s[14:15], s[14:15]
	s_cbranch_execz .LBB7_15
; %bb.12:
	s_mov_b32 s7, 0
	v_cmp_eq_u32_e32 vcc, 0, v1
	s_and_saveexec_b64 s[16:17], vcc
	s_cbranch_execz .LBB7_14
; %bb.13:
	s_lshl_b64 s[6:7], s[6:7], 2
	s_waitcnt lgkmcnt(0)
	s_add_u32 s6, s8, s6
	s_addc_u32 s7, s9, s7
	s_load_dword s6, s[6:7], 0x0
	s_mov_b64 s[18:19], src_shared_base
	v_mov_b32_e32 v1, 0x2020
	v_mov_b32_e32 v2, s19
	;; [unrolled: 1-line block ×3, first 2 shown]
	s_waitcnt lgkmcnt(0)
	v_mov_b32_e32 v4, s6
	flat_store_dword v[1:2], v4
	s_waitcnt vmcnt(0)
	v_mov_b32_e32 v4, 0x100000
	ds_write_b64 v3, v[3:4]
.LBB7_14:
	s_or_b64 exec, exec, s[16:17]
.LBB7_15:
	s_or_b64 exec, exec, s[14:15]
.LBB7_16:
	s_or_b64 exec, exec, s[12:13]
	s_mov_b64 s[6:7], src_shared_base
	v_lshlrev_b32_e32 v22, 3, v0
	s_movk_i32 s6, 0x7f
	v_lshlrev_b32_e32 v20, 1, v0
	v_lshlrev_b32_e32 v21, 2, v0
	v_mad_u32_u24 v23, v0, 24, v22
	v_cmp_eq_u32_e32 vcc, s6, v0
	s_waitcnt lgkmcnt(0)
	v_mov_b32_e32 v0, s1
	v_add_co_u32_e64 v24, s[0:1], s0, v22
	v_addc_co_u32_e64 v25, s[0:1], 0, v0, s[0:1]
	s_add_u32 s4, s4, 56
	v_mov_b32_e32 v0, s3
	v_add_co_u32_e64 v26, s[0:1], s2, v22
	s_addc_u32 s5, s5, 0
	v_mov_b32_e32 v4, 0
	v_addc_co_u32_e64 v27, s[0:1], 0, v0, s[0:1]
	s_mov_b64 s[8:9], 0
	s_movk_i32 s6, 0x2020
	v_mov_b32_e32 v5, 0x2020
	v_mov_b32_e32 v8, s7
	;; [unrolled: 1-line block ×5, first 2 shown]
	s_movk_i32 s12, 0x2024
	v_lshlrev_b32_e32 v28, 3, v21
	v_mov_b32_e32 v7, 0x2024
	v_mov_b32_e32 v11, 0x202c
	s_barrier
	s_branch .LBB7_19
.LBB7_17:                               ;   in Loop: Header=BB7_19 Depth=1
	s_or_b64 exec, exec, s[0:1]
	s_xor_b64 s[2:3], exec, -1
	s_waitcnt vmcnt(0) lgkmcnt(0)
	s_barrier
.LBB7_18:                               ;   in Loop: Header=BB7_19 Depth=1
	s_or_b64 exec, exec, s[14:15]
	s_and_b64 s[0:1], exec, s[2:3]
	s_or_b64 s[8:9], s[0:1], s[8:9]
	s_andn2_b64 exec, exec, s[8:9]
	s_cbranch_execz .LBB7_43
.LBB7_19:                               ; =>This Loop Header: Depth=1
                                        ;     Child Loop BB7_24 Depth 2
	flat_load_dword v0, v[5:6] glc
	s_waitcnt vmcnt(0)
	flat_load_dword v1, v[9:10] glc
	s_waitcnt vmcnt(0)
	s_mov_b64 s[2:3], -1
	s_mov_b64 s[16:17], -1
	s_waitcnt lgkmcnt(0)
	v_cmp_ge_u32_e64 s[0:1], v0, v1
	s_and_saveexec_b64 s[14:15], s[0:1]
	s_cbranch_execz .LBB7_21
; %bb.20:                               ;   in Loop: Header=BB7_19 Depth=1
	v_mov_b32_e32 v12, v8
	flat_load_dword v0, v[7:8] glc
	s_waitcnt vmcnt(0)
	flat_load_dword v1, v[11:12] glc
	s_waitcnt vmcnt(0) lgkmcnt(0)
	v_cmp_lt_u32_e64 s[0:1], v0, v1
	s_orn2_b64 s[16:17], s[0:1], exec
.LBB7_21:                               ;   in Loop: Header=BB7_19 Depth=1
	s_or_b64 exec, exec, s[14:15]
	s_and_saveexec_b64 s[14:15], s[16:17]
	s_cbranch_execz .LBB7_18
; %bb.22:                               ;   in Loop: Header=BB7_19 Depth=1
	v_mov_b32_e32 v0, s6
	v_mov_b32_e32 v1, s7
	flat_load_dword v3, v[0:1] glc
	s_waitcnt vmcnt(0)
	s_mov_b32 s13, s7
	v_mov_b32_e32 v12, s12
	v_mov_b32_e32 v13, s13
	flat_load_dword v14, v[12:13] glc
	s_waitcnt vmcnt(0)
	s_load_dword s0, s[4:5], 0xc
	v_mov_b32_e32 v15, v4
	s_mov_b64 s[18:19], 0
                                        ; implicit-def: $sgpr16_sgpr17
	s_waitcnt lgkmcnt(0)
	s_and_b32 s0, s0, 0xffff
	s_lshl_b32 s2, s0, 3
	v_add_u32_e32 v37, s2, v22
	v_add_u32_e32 v38, s2, v37
	;; [unrolled: 1-line block ×3, first 2 shown]
	v_lshlrev_b64 v[2:3], 3, v[3:4]
	v_add_co_u32_e64 v2, s[0:1], v24, v2
	v_lshlrev_b64 v[14:15], 3, v[14:15]
	v_addc_co_u32_e64 v3, s[0:1], v25, v3, s[0:1]
	v_add_co_u32_e64 v14, s[0:1], v26, v14
	v_addc_co_u32_e64 v15, s[0:1], v27, v15, s[0:1]
	global_load_dwordx2 v[16:17], v[2:3], off
	v_add_co_u32_e64 v2, s[0:1], s2, v2
	v_addc_co_u32_e64 v3, s[0:1], 0, v3, s[0:1]
	global_load_dwordx2 v[18:19], v[14:15], off
	global_load_dwordx2 v[29:30], v[2:3], off
	v_add_co_u32_e64 v14, s[0:1], s2, v14
	v_addc_co_u32_e64 v15, s[0:1], 0, v15, s[0:1]
	v_add_co_u32_e64 v2, s[0:1], s2, v2
	v_addc_co_u32_e64 v3, s[0:1], 0, v3, s[0:1]
	v_add_co_u32_e64 v31, s[0:1], s2, v14
	v_addc_co_u32_e64 v32, s[0:1], 0, v15, s[0:1]
	v_add_co_u32_e64 v33, s[0:1], s2, v2
	v_addc_co_u32_e64 v34, s[0:1], 0, v3, s[0:1]
	v_add_co_u32_e64 v35, s[0:1], s2, v31
	v_addc_co_u32_e64 v36, s[0:1], 0, v32, s[0:1]
	global_load_dwordx2 v[14:15], v[14:15], off
	s_mov_b64 s[2:3], 0
	global_load_dwordx2 v[2:3], v[2:3], off
	s_nop 0
	global_load_dwordx2 v[31:32], v[31:32], off
	s_nop 0
	;; [unrolled: 2-line block ×3, first 2 shown]
	global_load_dwordx2 v[35:36], v[35:36], off
	s_waitcnt vmcnt(7)
	ds_write_b64 v22, v[16:17] offset:8
	s_waitcnt vmcnt(6)
	ds_write_b64 v22, v[18:19] offset:4120
	;; [unrolled: 2-line block ×8, first 2 shown]
	flat_load_dword v3, v[0:1] glc
	s_waitcnt vmcnt(0)
	flat_load_dword v0, v[12:13] glc
	s_waitcnt vmcnt(0)
	v_mov_b32_e32 v1, v20
	v_or_b32_e32 v2, 1, v20
	s_waitcnt lgkmcnt(0)
	s_barrier
	s_branch .LBB7_24
.LBB7_23:                               ;   in Loop: Header=BB7_24 Depth=2
	s_or_b64 exec, exec, s[18:19]
	s_and_b64 s[0:1], exec, s[16:17]
	s_or_b64 s[2:3], s[0:1], s[2:3]
	s_mov_b64 s[18:19], 0
                                        ; implicit-def: $sgpr16_sgpr17
	s_andn2_b64 exec, exec, s[2:3]
	s_cbranch_execz .LBB7_29
.LBB7_24:                               ;   Parent Loop BB7_19 Depth=1
                                        ; =>  This Inner Loop Header: Depth=2
	v_mov_b32_e32 v16, v2
	v_lshlrev_b32_e32 v17, 3, v16
	v_not_b32_e32 v2, v16
	v_lshl_add_u32 v14, v2, 3, v23
	ds_read_b64 v[12:13], v17
	ds_read_b64 v[18:19], v14 offset:4128
	v_add_u32_e32 v1, 1, v1
	v_lshrrev_b32_e32 v1, 1, v1
	s_or_b64 s[16:17], s[16:17], exec
                                        ; implicit-def: $vgpr2
	s_waitcnt lgkmcnt(0)
	v_cmp_ngt_f64_e64 s[0:1], v[12:13], v[18:19]
	s_and_saveexec_b64 s[20:21], s[0:1]
; %bb.25:                               ;   in Loop: Header=BB7_24 Depth=2
	v_add_u32_e32 v2, v1, v16
	s_andn2_b64 s[16:17], s[16:17], exec
; %bb.26:                               ;   in Loop: Header=BB7_24 Depth=2
	s_or_b64 exec, exec, s[20:21]
	s_and_b64 s[0:1], exec, s[16:17]
	s_or_b64 s[18:19], s[0:1], s[18:19]
	s_andn2_b64 exec, exec, s[18:19]
	s_cbranch_execnz .LBB7_24
; %bb.27:                               ;   in Loop: Header=BB7_24 Depth=2
	s_or_b64 exec, exec, s[18:19]
	v_add_u32_e32 v2, -8, v17
	ds_read_b64 v[18:19], v2
	ds_read_b64 v[14:15], v14 offset:4136
	s_mov_b64 s[16:17], -1
                                        ; implicit-def: $vgpr2
	s_waitcnt lgkmcnt(0)
	v_cmp_nle_f64_e64 s[0:1], v[18:19], v[14:15]
	s_and_saveexec_b64 s[18:19], s[0:1]
	s_cbranch_execz .LBB7_23
; %bb.28:                               ;   in Loop: Header=BB7_24 Depth=2
	v_sub_u32_e32 v2, v16, v1
	s_xor_b64 s[16:17], exec, -1
	s_branch .LBB7_23
.LBB7_29:                               ;   in Loop: Header=BB7_19 Depth=1
	s_or_b64 exec, exec, s[2:3]
	v_sub_u32_e32 v1, v21, v16
	v_lshlrev_b32_e32 v30, 3, v1
	ds_read_b64 v[1:2], v30 offset:4128
                                        ; implicit-def: $vgpr14_vgpr15
                                        ; implicit-def: $vgpr31
	s_waitcnt lgkmcnt(0)
	v_cmp_ngt_f64_e64 s[0:1], v[12:13], v[1:2]
	s_and_saveexec_b64 s[2:3], s[0:1]
	s_xor_b64 s[0:1], exec, s[2:3]
; %bb.30:                               ;   in Loop: Header=BB7_19 Depth=1
	ds_read_b64 v[14:15], v17 offset:8
	v_add_u32_e32 v31, 1, v16
                                        ; implicit-def: $vgpr30
; %bb.31:                               ;   in Loop: Header=BB7_19 Depth=1
	s_or_saveexec_b64 s[0:1], s[0:1]
	v_or_b32_e32 v17, 2, v21
	v_mov_b32_e32 v19, v2
	v_sub_u32_e32 v29, v17, v16
	v_mov_b32_e32 v18, v1
	s_xor_b64 exec, exec, s[0:1]
	s_cbranch_execz .LBB7_33
; %bb.32:                               ;   in Loop: Header=BB7_19 Depth=1
	ds_read_b64 v[18:19], v30 offset:4136
	s_waitcnt lgkmcnt(1)
	v_mov_b32_e32 v15, v13
	v_mov_b32_e32 v14, v12
	;; [unrolled: 1-line block ×3, first 2 shown]
	v_add_u32_e32 v29, 1, v29
	v_mov_b32_e32 v31, v16
	v_mov_b32_e32 v12, v1
.LBB7_33:                               ;   in Loop: Header=BB7_19 Depth=1
	s_or_b64 exec, exec, s[0:1]
	v_lshlrev_b64 v[2:3], 3, v[3:4]
	v_mov_b32_e32 v16, s11
	v_add_co_u32_e64 v2, s[0:1], s10, v2
	v_addc_co_u32_e64 v3, s[0:1], v16, v3, s[0:1]
	s_waitcnt lgkmcnt(0)
	v_cmp_ngt_f64_e64 s[0:1], v[14:15], v[18:19]
	v_mov_b32_e32 v1, v4
	v_lshlrev_b64 v[0:1], 3, v[0:1]
                                        ; implicit-def: $vgpr30
	v_add_co_u32_e64 v0, s[2:3], v2, v0
	v_addc_co_u32_e64 v1, s[2:3], v3, v1, s[2:3]
	v_add_co_u32_e64 v16, s[2:3], v0, v28
	v_addc_co_u32_e64 v17, s[2:3], 0, v1, s[2:3]
	global_store_dwordx2 v[16:17], v[12:13], off
                                        ; implicit-def: $vgpr0_vgpr1
	s_and_saveexec_b64 s[2:3], s[0:1]
	s_xor_b64 s[0:1], exec, s[2:3]
; %bb.34:                               ;   in Loop: Header=BB7_19 Depth=1
	v_lshlrev_b32_e32 v0, 3, v31
	ds_read_b64 v[0:1], v0 offset:8
	v_add_u32_e32 v30, 1, v31
                                        ; implicit-def: $vgpr31
; %bb.35:                               ;   in Loop: Header=BB7_19 Depth=1
	s_or_saveexec_b64 s[0:1], s[0:1]
	v_mov_b32_e32 v2, v18
	v_mov_b32_e32 v3, v19
	s_xor_b64 exec, exec, s[0:1]
	s_cbranch_execz .LBB7_37
; %bb.36:                               ;   in Loop: Header=BB7_19 Depth=1
	s_waitcnt lgkmcnt(0)
	v_lshlrev_b32_e32 v1, 3, v29
	ds_read_b64 v[2:3], v1 offset:4120
	v_add_u32_e32 v0, 1, v29
	v_mov_b32_e32 v29, v0
	v_mov_b32_e32 v0, v14
	;; [unrolled: 1-line block ×6, first 2 shown]
.LBB7_37:                               ;   in Loop: Header=BB7_19 Depth=1
	s_or_b64 exec, exec, s[0:1]
	s_waitcnt lgkmcnt(0)
	v_cmp_ngt_f64_e64 s[0:1], v[0:1], v[2:3]
	global_store_dwordx2 v[16:17], v[14:15], off offset:8
                                        ; implicit-def: $vgpr12_vgpr13
	s_and_saveexec_b64 s[2:3], s[0:1]
	s_xor_b64 s[0:1], exec, s[2:3]
; %bb.38:                               ;   in Loop: Header=BB7_19 Depth=1
	v_lshlrev_b32_e32 v12, 3, v30
	ds_read_b64 v[12:13], v12 offset:8
	v_add_u32_e32 v29, -1, v29
; %bb.39:                               ;   in Loop: Header=BB7_19 Depth=1
	s_or_saveexec_b64 s[0:1], s[0:1]
	v_mov_b32_e32 v15, v3
	v_mov_b32_e32 v14, v2
	s_xor_b64 exec, exec, s[0:1]
	s_cbranch_execz .LBB7_41
; %bb.40:                               ;   in Loop: Header=BB7_19 Depth=1
	s_waitcnt lgkmcnt(0)
	v_lshlrev_b32_e32 v12, 3, v29
	ds_read_b64 v[14:15], v12 offset:4120
	v_mov_b32_e32 v13, v1
	v_mov_b32_e32 v12, v0
	;; [unrolled: 1-line block ×3, first 2 shown]
	v_add_u32_e32 v30, -1, v30
	v_mov_b32_e32 v1, v3
.LBB7_41:                               ;   in Loop: Header=BB7_19 Depth=1
	s_or_b64 exec, exec, s[0:1]
	s_waitcnt lgkmcnt(0)
	v_cmp_gt_f64_e64 s[0:1], v[12:13], v[14:15]
	v_cndmask_b32_e64 v3, v13, v15, s[0:1]
	v_cndmask_b32_e64 v2, v12, v14, s[0:1]
	global_store_dwordx4 v[16:17], v[0:3], off offset:16
	s_and_saveexec_b64 s[0:1], vcc
	s_cbranch_execz .LBB7_17
; %bb.42:                               ;   in Loop: Header=BB7_19 Depth=1
	v_mov_b32_e32 v0, s6
	v_mov_b32_e32 v1, s7
	flat_load_dword v2, v[0:1] glc
	s_waitcnt vmcnt(0)
	s_mov_b32 s13, s7
	s_waitcnt lgkmcnt(0)
	v_add_u32_e32 v2, v2, v30
	flat_store_dword v[0:1], v2
	s_waitcnt vmcnt(0)
	v_mov_b32_e32 v0, s12
	v_mov_b32_e32 v1, s13
	flat_load_dword v2, v[0:1] glc
	s_waitcnt vmcnt(0) lgkmcnt(0)
	v_add_u32_e32 v2, v2, v29
	flat_store_dword v[0:1], v2
	s_waitcnt vmcnt(0)
	s_branch .LBB7_17
.LBB7_43:
	s_endpgm
	.section	.rodata,"a",@progbits
	.p2align	6, 0x0
	.amdhsa_kernel _Z15mergeSinglePathIdLb0ELb0EEvPKT_jS2_jPKjPS0_j
		.amdhsa_group_segment_fixed_size 8240
		.amdhsa_private_segment_fixed_size 0
		.amdhsa_kernarg_size 312
		.amdhsa_user_sgpr_count 6
		.amdhsa_user_sgpr_private_segment_buffer 1
		.amdhsa_user_sgpr_dispatch_ptr 0
		.amdhsa_user_sgpr_queue_ptr 0
		.amdhsa_user_sgpr_kernarg_segment_ptr 1
		.amdhsa_user_sgpr_dispatch_id 0
		.amdhsa_user_sgpr_flat_scratch_init 0
		.amdhsa_user_sgpr_private_segment_size 0
		.amdhsa_uses_dynamic_stack 0
		.amdhsa_system_sgpr_private_segment_wavefront_offset 0
		.amdhsa_system_sgpr_workgroup_id_x 1
		.amdhsa_system_sgpr_workgroup_id_y 0
		.amdhsa_system_sgpr_workgroup_id_z 0
		.amdhsa_system_sgpr_workgroup_info 0
		.amdhsa_system_vgpr_workitem_id 0
		.amdhsa_next_free_vgpr 40
		.amdhsa_next_free_sgpr 61
		.amdhsa_reserve_vcc 1
		.amdhsa_reserve_flat_scratch 0
		.amdhsa_float_round_mode_32 0
		.amdhsa_float_round_mode_16_64 0
		.amdhsa_float_denorm_mode_32 3
		.amdhsa_float_denorm_mode_16_64 3
		.amdhsa_dx10_clamp 1
		.amdhsa_ieee_mode 1
		.amdhsa_fp16_overflow 0
		.amdhsa_exception_fp_ieee_invalid_op 0
		.amdhsa_exception_fp_denorm_src 0
		.amdhsa_exception_fp_ieee_div_zero 0
		.amdhsa_exception_fp_ieee_overflow 0
		.amdhsa_exception_fp_ieee_underflow 0
		.amdhsa_exception_fp_ieee_inexact 0
		.amdhsa_exception_int_div_zero 0
	.end_amdhsa_kernel
	.section	.text._Z15mergeSinglePathIdLb0ELb0EEvPKT_jS2_jPKjPS0_j,"axG",@progbits,_Z15mergeSinglePathIdLb0ELb0EEvPKT_jS2_jPKjPS0_j,comdat
.Lfunc_end7:
	.size	_Z15mergeSinglePathIdLb0ELb0EEvPKT_jS2_jPKjPS0_j, .Lfunc_end7-_Z15mergeSinglePathIdLb0ELb0EEvPKT_jS2_jPKjPS0_j
                                        ; -- End function
	.set _Z15mergeSinglePathIdLb0ELb0EEvPKT_jS2_jPKjPS0_j.num_vgpr, 40
	.set _Z15mergeSinglePathIdLb0ELb0EEvPKT_jS2_jPKjPS0_j.num_agpr, 0
	.set _Z15mergeSinglePathIdLb0ELb0EEvPKT_jS2_jPKjPS0_j.numbered_sgpr, 22
	.set _Z15mergeSinglePathIdLb0ELb0EEvPKT_jS2_jPKjPS0_j.num_named_barrier, 0
	.set _Z15mergeSinglePathIdLb0ELb0EEvPKT_jS2_jPKjPS0_j.private_seg_size, 0
	.set _Z15mergeSinglePathIdLb0ELb0EEvPKT_jS2_jPKjPS0_j.uses_vcc, 1
	.set _Z15mergeSinglePathIdLb0ELb0EEvPKT_jS2_jPKjPS0_j.uses_flat_scratch, 0
	.set _Z15mergeSinglePathIdLb0ELb0EEvPKT_jS2_jPKjPS0_j.has_dyn_sized_stack, 0
	.set _Z15mergeSinglePathIdLb0ELb0EEvPKT_jS2_jPKjPS0_j.has_recursion, 0
	.set _Z15mergeSinglePathIdLb0ELb0EEvPKT_jS2_jPKjPS0_j.has_indirect_call, 0
	.section	.AMDGPU.csdata,"",@progbits
; Kernel info:
; codeLenInByte = 1992
; TotalNumSgprs: 26
; NumVgprs: 40
; ScratchSize: 0
; MemoryBound: 0
; FloatMode: 240
; IeeeMode: 1
; LDSByteSize: 8240 bytes/workgroup (compile time only)
; SGPRBlocks: 8
; VGPRBlocks: 9
; NumSGPRsForWavesPerEU: 65
; NumVGPRsForWavesPerEU: 40
; Occupancy: 6
; WaveLimiterHint : 1
; COMPUTE_PGM_RSRC2:SCRATCH_EN: 0
; COMPUTE_PGM_RSRC2:USER_SGPR: 6
; COMPUTE_PGM_RSRC2:TRAP_HANDLER: 0
; COMPUTE_PGM_RSRC2:TGID_X_EN: 1
; COMPUTE_PGM_RSRC2:TGID_Y_EN: 0
; COMPUTE_PGM_RSRC2:TGID_Z_EN: 0
; COMPUTE_PGM_RSRC2:TIDIG_COMP_CNT: 0
	.section	.AMDGPU.gpr_maximums,"",@progbits
	.set amdgpu.max_num_vgpr, 0
	.set amdgpu.max_num_agpr, 0
	.set amdgpu.max_num_sgpr, 0
	.section	.AMDGPU.csdata,"",@progbits
	.type	__hip_cuid_8563e4d8bd229292,@object ; @__hip_cuid_8563e4d8bd229292
	.section	.bss,"aw",@nobits
	.globl	__hip_cuid_8563e4d8bd229292
__hip_cuid_8563e4d8bd229292:
	.byte	0                               ; 0x0
	.size	__hip_cuid_8563e4d8bd229292, 1

	.ident	"AMD clang version 22.0.0git (https://github.com/RadeonOpenCompute/llvm-project roc-7.2.4 26084 f58b06dce1f9c15707c5f808fd002e18c2accf7e)"
	.section	".note.GNU-stack","",@progbits
	.addrsig
	.addrsig_sym __hip_cuid_8563e4d8bd229292
	.amdgpu_metadata
---
amdhsa.kernels:
  - .args:
      - .actual_access:  read_only
        .address_space:  global
        .offset:         0
        .size:           8
        .value_kind:     global_buffer
      - .offset:         8
        .size:           4
        .value_kind:     by_value
      - .actual_access:  read_only
        .address_space:  global
        .offset:         16
        .size:           8
        .value_kind:     global_buffer
      - .offset:         24
        .size:           4
        .value_kind:     by_value
      - .actual_access:  write_only
        .address_space:  global
        .offset:         32
        .size:           8
        .value_kind:     global_buffer
      - .offset:         40
        .size:           4
        .value_kind:     hidden_block_count_x
      - .offset:         44
        .size:           4
        .value_kind:     hidden_block_count_y
      - .offset:         48
        .size:           4
        .value_kind:     hidden_block_count_z
      - .offset:         52
        .size:           2
        .value_kind:     hidden_group_size_x
      - .offset:         54
        .size:           2
        .value_kind:     hidden_group_size_y
      - .offset:         56
        .size:           2
        .value_kind:     hidden_group_size_z
      - .offset:         58
        .size:           2
        .value_kind:     hidden_remainder_x
      - .offset:         60
        .size:           2
        .value_kind:     hidden_remainder_y
      - .offset:         62
        .size:           2
        .value_kind:     hidden_remainder_z
      - .offset:         80
        .size:           8
        .value_kind:     hidden_global_offset_x
      - .offset:         88
        .size:           8
        .value_kind:     hidden_global_offset_y
      - .offset:         96
        .size:           8
        .value_kind:     hidden_global_offset_z
      - .offset:         104
        .size:           2
        .value_kind:     hidden_grid_dims
    .group_segment_fixed_size: 148
    .kernarg_segment_align: 8
    .kernarg_segment_size: 296
    .language:       OpenCL C
    .language_version:
      - 2
      - 0
    .max_flat_workgroup_size: 1024
    .name:           _Z17workloadDiagonalsIjEvPKT_jS2_jPj
    .private_segment_fixed_size: 0
    .sgpr_count:     36
    .sgpr_spill_count: 0
    .symbol:         _Z17workloadDiagonalsIjEvPKT_jS2_jPj.kd
    .uniform_work_group_size: 1
    .uses_dynamic_stack: false
    .vgpr_count:     24
    .vgpr_spill_count: 0
    .wavefront_size: 64
  - .args:
      - .actual_access:  read_only
        .address_space:  global
        .offset:         0
        .size:           8
        .value_kind:     global_buffer
      - .offset:         8
        .size:           4
        .value_kind:     by_value
      - .actual_access:  read_only
        .address_space:  global
        .offset:         16
        .size:           8
        .value_kind:     global_buffer
      - .offset:         24
        .size:           4
        .value_kind:     by_value
      - .actual_access:  read_only
        .address_space:  global
        .offset:         32
        .size:           8
        .value_kind:     global_buffer
      - .actual_access:  write_only
        .address_space:  global
        .offset:         40
        .size:           8
        .value_kind:     global_buffer
      - .offset:         48
        .size:           4
        .value_kind:     by_value
      - .offset:         56
        .size:           4
        .value_kind:     hidden_block_count_x
      - .offset:         60
        .size:           4
        .value_kind:     hidden_block_count_y
      - .offset:         64
        .size:           4
        .value_kind:     hidden_block_count_z
      - .offset:         68
        .size:           2
        .value_kind:     hidden_group_size_x
      - .offset:         70
        .size:           2
        .value_kind:     hidden_group_size_y
      - .offset:         72
        .size:           2
        .value_kind:     hidden_group_size_z
      - .offset:         74
        .size:           2
        .value_kind:     hidden_remainder_x
      - .offset:         76
        .size:           2
        .value_kind:     hidden_remainder_y
      - .offset:         78
        .size:           2
        .value_kind:     hidden_remainder_z
      - .offset:         96
        .size:           8
        .value_kind:     hidden_global_offset_x
      - .offset:         104
        .size:           8
        .value_kind:     hidden_global_offset_y
      - .offset:         112
        .size:           8
        .value_kind:     hidden_global_offset_z
      - .offset:         120
        .size:           2
        .value_kind:     hidden_grid_dims
    .group_segment_fixed_size: 4128
    .kernarg_segment_align: 8
    .kernarg_segment_size: 312
    .language:       OpenCL C
    .language_version:
      - 2
      - 0
    .max_flat_workgroup_size: 1024
    .name:           _Z15mergeSinglePathIjLb0ELb0EEvPKT_jS2_jPKjPS0_j
    .private_segment_fixed_size: 0
    .sgpr_count:     26
    .sgpr_spill_count: 0
    .symbol:         _Z15mergeSinglePathIjLb0ELb0EEvPKT_jS2_jPKjPS0_j.kd
    .uniform_work_group_size: 1
    .uses_dynamic_stack: false
    .vgpr_count:     32
    .vgpr_spill_count: 0
    .wavefront_size: 64
  - .args:
      - .actual_access:  read_only
        .address_space:  global
        .offset:         0
        .size:           8
        .value_kind:     global_buffer
      - .offset:         8
        .size:           4
        .value_kind:     by_value
      - .actual_access:  read_only
        .address_space:  global
        .offset:         16
        .size:           8
        .value_kind:     global_buffer
      - .offset:         24
        .size:           4
        .value_kind:     by_value
      - .actual_access:  write_only
        .address_space:  global
        .offset:         32
        .size:           8
        .value_kind:     global_buffer
      - .offset:         40
        .size:           4
        .value_kind:     hidden_block_count_x
      - .offset:         44
        .size:           4
        .value_kind:     hidden_block_count_y
      - .offset:         48
        .size:           4
        .value_kind:     hidden_block_count_z
      - .offset:         52
        .size:           2
        .value_kind:     hidden_group_size_x
      - .offset:         54
        .size:           2
        .value_kind:     hidden_group_size_y
      - .offset:         56
        .size:           2
        .value_kind:     hidden_group_size_z
      - .offset:         58
        .size:           2
        .value_kind:     hidden_remainder_x
      - .offset:         60
        .size:           2
        .value_kind:     hidden_remainder_y
      - .offset:         62
        .size:           2
        .value_kind:     hidden_remainder_z
      - .offset:         80
        .size:           8
        .value_kind:     hidden_global_offset_x
      - .offset:         88
        .size:           8
        .value_kind:     hidden_global_offset_y
      - .offset:         96
        .size:           8
        .value_kind:     hidden_global_offset_z
      - .offset:         104
        .size:           2
        .value_kind:     hidden_grid_dims
    .group_segment_fixed_size: 148
    .kernarg_segment_align: 8
    .kernarg_segment_size: 296
    .language:       OpenCL C
    .language_version:
      - 2
      - 0
    .max_flat_workgroup_size: 1024
    .name:           _Z17workloadDiagonalsIfEvPKT_jS2_jPj
    .private_segment_fixed_size: 0
    .sgpr_count:     36
    .sgpr_spill_count: 0
    .symbol:         _Z17workloadDiagonalsIfEvPKT_jS2_jPj.kd
    .uniform_work_group_size: 1
    .uses_dynamic_stack: false
    .vgpr_count:     24
    .vgpr_spill_count: 0
    .wavefront_size: 64
  - .args:
      - .actual_access:  read_only
        .address_space:  global
        .offset:         0
        .size:           8
        .value_kind:     global_buffer
      - .offset:         8
        .size:           4
        .value_kind:     by_value
      - .actual_access:  read_only
        .address_space:  global
        .offset:         16
        .size:           8
        .value_kind:     global_buffer
      - .offset:         24
        .size:           4
        .value_kind:     by_value
      - .actual_access:  read_only
        .address_space:  global
        .offset:         32
        .size:           8
        .value_kind:     global_buffer
      - .actual_access:  write_only
        .address_space:  global
        .offset:         40
        .size:           8
        .value_kind:     global_buffer
      - .offset:         48
        .size:           4
        .value_kind:     by_value
      - .offset:         56
        .size:           4
        .value_kind:     hidden_block_count_x
      - .offset:         60
        .size:           4
        .value_kind:     hidden_block_count_y
      - .offset:         64
        .size:           4
        .value_kind:     hidden_block_count_z
      - .offset:         68
        .size:           2
        .value_kind:     hidden_group_size_x
      - .offset:         70
        .size:           2
        .value_kind:     hidden_group_size_y
      - .offset:         72
        .size:           2
        .value_kind:     hidden_group_size_z
      - .offset:         74
        .size:           2
        .value_kind:     hidden_remainder_x
      - .offset:         76
        .size:           2
        .value_kind:     hidden_remainder_y
      - .offset:         78
        .size:           2
        .value_kind:     hidden_remainder_z
      - .offset:         96
        .size:           8
        .value_kind:     hidden_global_offset_x
      - .offset:         104
        .size:           8
        .value_kind:     hidden_global_offset_y
      - .offset:         112
        .size:           8
        .value_kind:     hidden_global_offset_z
      - .offset:         120
        .size:           2
        .value_kind:     hidden_grid_dims
    .group_segment_fixed_size: 4128
    .kernarg_segment_align: 8
    .kernarg_segment_size: 312
    .language:       OpenCL C
    .language_version:
      - 2
      - 0
    .max_flat_workgroup_size: 1024
    .name:           _Z15mergeSinglePathIfLb0ELb0EEvPKT_jS2_jPKjPS0_j
    .private_segment_fixed_size: 0
    .sgpr_count:     26
    .sgpr_spill_count: 0
    .symbol:         _Z15mergeSinglePathIfLb0ELb0EEvPKT_jS2_jPKjPS0_j.kd
    .uniform_work_group_size: 1
    .uses_dynamic_stack: false
    .vgpr_count:     32
    .vgpr_spill_count: 0
    .wavefront_size: 64
  - .args:
      - .actual_access:  read_only
        .address_space:  global
        .offset:         0
        .size:           8
        .value_kind:     global_buffer
      - .offset:         8
        .size:           4
        .value_kind:     by_value
      - .actual_access:  read_only
        .address_space:  global
        .offset:         16
        .size:           8
        .value_kind:     global_buffer
      - .offset:         24
        .size:           4
        .value_kind:     by_value
      - .actual_access:  write_only
        .address_space:  global
        .offset:         32
        .size:           8
        .value_kind:     global_buffer
      - .offset:         40
        .size:           4
        .value_kind:     hidden_block_count_x
      - .offset:         44
        .size:           4
        .value_kind:     hidden_block_count_y
      - .offset:         48
        .size:           4
        .value_kind:     hidden_block_count_z
      - .offset:         52
        .size:           2
        .value_kind:     hidden_group_size_x
      - .offset:         54
        .size:           2
        .value_kind:     hidden_group_size_y
      - .offset:         56
        .size:           2
        .value_kind:     hidden_group_size_z
      - .offset:         58
        .size:           2
        .value_kind:     hidden_remainder_x
      - .offset:         60
        .size:           2
        .value_kind:     hidden_remainder_y
      - .offset:         62
        .size:           2
        .value_kind:     hidden_remainder_z
      - .offset:         80
        .size:           8
        .value_kind:     hidden_global_offset_x
      - .offset:         88
        .size:           8
        .value_kind:     hidden_global_offset_y
      - .offset:         96
        .size:           8
        .value_kind:     hidden_global_offset_z
      - .offset:         104
        .size:           2
        .value_kind:     hidden_grid_dims
    .group_segment_fixed_size: 148
    .kernarg_segment_align: 8
    .kernarg_segment_size: 296
    .language:       OpenCL C
    .language_version:
      - 2
      - 0
    .max_flat_workgroup_size: 1024
    .name:           _Z17workloadDiagonalsImEvPKT_jS2_jPj
    .private_segment_fixed_size: 0
    .sgpr_count:     36
    .sgpr_spill_count: 0
    .symbol:         _Z17workloadDiagonalsImEvPKT_jS2_jPj.kd
    .uniform_work_group_size: 1
    .uses_dynamic_stack: false
    .vgpr_count:     23
    .vgpr_spill_count: 0
    .wavefront_size: 64
  - .args:
      - .actual_access:  read_only
        .address_space:  global
        .offset:         0
        .size:           8
        .value_kind:     global_buffer
      - .offset:         8
        .size:           4
        .value_kind:     by_value
      - .actual_access:  read_only
        .address_space:  global
        .offset:         16
        .size:           8
        .value_kind:     global_buffer
      - .offset:         24
        .size:           4
        .value_kind:     by_value
      - .actual_access:  read_only
        .address_space:  global
        .offset:         32
        .size:           8
        .value_kind:     global_buffer
      - .actual_access:  write_only
        .address_space:  global
        .offset:         40
        .size:           8
        .value_kind:     global_buffer
      - .offset:         48
        .size:           4
        .value_kind:     by_value
      - .offset:         56
        .size:           4
        .value_kind:     hidden_block_count_x
      - .offset:         60
        .size:           4
        .value_kind:     hidden_block_count_y
      - .offset:         64
        .size:           4
        .value_kind:     hidden_block_count_z
      - .offset:         68
        .size:           2
        .value_kind:     hidden_group_size_x
      - .offset:         70
        .size:           2
        .value_kind:     hidden_group_size_y
      - .offset:         72
        .size:           2
        .value_kind:     hidden_group_size_z
      - .offset:         74
        .size:           2
        .value_kind:     hidden_remainder_x
      - .offset:         76
        .size:           2
        .value_kind:     hidden_remainder_y
      - .offset:         78
        .size:           2
        .value_kind:     hidden_remainder_z
      - .offset:         96
        .size:           8
        .value_kind:     hidden_global_offset_x
      - .offset:         104
        .size:           8
        .value_kind:     hidden_global_offset_y
      - .offset:         112
        .size:           8
        .value_kind:     hidden_global_offset_z
      - .offset:         120
        .size:           2
        .value_kind:     hidden_grid_dims
    .group_segment_fixed_size: 8240
    .kernarg_segment_align: 8
    .kernarg_segment_size: 312
    .language:       OpenCL C
    .language_version:
      - 2
      - 0
    .max_flat_workgroup_size: 1024
    .name:           _Z15mergeSinglePathImLb0ELb0EEvPKT_jS2_jPKjPS0_j
    .private_segment_fixed_size: 0
    .sgpr_count:     26
    .sgpr_spill_count: 0
    .symbol:         _Z15mergeSinglePathImLb0ELb0EEvPKT_jS2_jPKjPS0_j.kd
    .uniform_work_group_size: 1
    .uses_dynamic_stack: false
    .vgpr_count:     40
    .vgpr_spill_count: 0
    .wavefront_size: 64
  - .args:
      - .actual_access:  read_only
        .address_space:  global
        .offset:         0
        .size:           8
        .value_kind:     global_buffer
      - .offset:         8
        .size:           4
        .value_kind:     by_value
      - .actual_access:  read_only
        .address_space:  global
        .offset:         16
        .size:           8
        .value_kind:     global_buffer
      - .offset:         24
        .size:           4
        .value_kind:     by_value
      - .actual_access:  write_only
        .address_space:  global
        .offset:         32
        .size:           8
        .value_kind:     global_buffer
      - .offset:         40
        .size:           4
        .value_kind:     hidden_block_count_x
      - .offset:         44
        .size:           4
        .value_kind:     hidden_block_count_y
      - .offset:         48
        .size:           4
        .value_kind:     hidden_block_count_z
      - .offset:         52
        .size:           2
        .value_kind:     hidden_group_size_x
      - .offset:         54
        .size:           2
        .value_kind:     hidden_group_size_y
      - .offset:         56
        .size:           2
        .value_kind:     hidden_group_size_z
      - .offset:         58
        .size:           2
        .value_kind:     hidden_remainder_x
      - .offset:         60
        .size:           2
        .value_kind:     hidden_remainder_y
      - .offset:         62
        .size:           2
        .value_kind:     hidden_remainder_z
      - .offset:         80
        .size:           8
        .value_kind:     hidden_global_offset_x
      - .offset:         88
        .size:           8
        .value_kind:     hidden_global_offset_y
      - .offset:         96
        .size:           8
        .value_kind:     hidden_global_offset_z
      - .offset:         104
        .size:           2
        .value_kind:     hidden_grid_dims
    .group_segment_fixed_size: 148
    .kernarg_segment_align: 8
    .kernarg_segment_size: 296
    .language:       OpenCL C
    .language_version:
      - 2
      - 0
    .max_flat_workgroup_size: 1024
    .name:           _Z17workloadDiagonalsIdEvPKT_jS2_jPj
    .private_segment_fixed_size: 0
    .sgpr_count:     36
    .sgpr_spill_count: 0
    .symbol:         _Z17workloadDiagonalsIdEvPKT_jS2_jPj.kd
    .uniform_work_group_size: 1
    .uses_dynamic_stack: false
    .vgpr_count:     23
    .vgpr_spill_count: 0
    .wavefront_size: 64
  - .args:
      - .actual_access:  read_only
        .address_space:  global
        .offset:         0
        .size:           8
        .value_kind:     global_buffer
      - .offset:         8
        .size:           4
        .value_kind:     by_value
      - .actual_access:  read_only
        .address_space:  global
        .offset:         16
        .size:           8
        .value_kind:     global_buffer
      - .offset:         24
        .size:           4
        .value_kind:     by_value
      - .actual_access:  read_only
        .address_space:  global
        .offset:         32
        .size:           8
        .value_kind:     global_buffer
      - .actual_access:  write_only
        .address_space:  global
        .offset:         40
        .size:           8
        .value_kind:     global_buffer
      - .offset:         48
        .size:           4
        .value_kind:     by_value
      - .offset:         56
        .size:           4
        .value_kind:     hidden_block_count_x
      - .offset:         60
        .size:           4
        .value_kind:     hidden_block_count_y
      - .offset:         64
        .size:           4
        .value_kind:     hidden_block_count_z
      - .offset:         68
        .size:           2
        .value_kind:     hidden_group_size_x
      - .offset:         70
        .size:           2
        .value_kind:     hidden_group_size_y
      - .offset:         72
        .size:           2
        .value_kind:     hidden_group_size_z
      - .offset:         74
        .size:           2
        .value_kind:     hidden_remainder_x
      - .offset:         76
        .size:           2
        .value_kind:     hidden_remainder_y
      - .offset:         78
        .size:           2
        .value_kind:     hidden_remainder_z
      - .offset:         96
        .size:           8
        .value_kind:     hidden_global_offset_x
      - .offset:         104
        .size:           8
        .value_kind:     hidden_global_offset_y
      - .offset:         112
        .size:           8
        .value_kind:     hidden_global_offset_z
      - .offset:         120
        .size:           2
        .value_kind:     hidden_grid_dims
    .group_segment_fixed_size: 8240
    .kernarg_segment_align: 8
    .kernarg_segment_size: 312
    .language:       OpenCL C
    .language_version:
      - 2
      - 0
    .max_flat_workgroup_size: 1024
    .name:           _Z15mergeSinglePathIdLb0ELb0EEvPKT_jS2_jPKjPS0_j
    .private_segment_fixed_size: 0
    .sgpr_count:     26
    .sgpr_spill_count: 0
    .symbol:         _Z15mergeSinglePathIdLb0ELb0EEvPKT_jS2_jPKjPS0_j.kd
    .uniform_work_group_size: 1
    .uses_dynamic_stack: false
    .vgpr_count:     40
    .vgpr_spill_count: 0
    .wavefront_size: 64
amdhsa.target:   amdgcn-amd-amdhsa--gfx906
amdhsa.version:
  - 1
  - 2
...

	.end_amdgpu_metadata
